;; amdgpu-corpus repo=zjin-lcf/HeCBench kind=compiled arch=gfx90a opt=O3
	.text
	.amdgcn_target "amdgcn-amd-amdhsa--gfx90a"
	.amdhsa_code_object_version 6
	.protected	_Z16shuffling_kernelPhPKhjj ; -- Begin function _Z16shuffling_kernelPhPKhjj
	.globl	_Z16shuffling_kernelPhPKhjj
	.p2align	8
	.type	_Z16shuffling_kernelPhPKhjj,@function
_Z16shuffling_kernelPhPKhjj:            ; @_Z16shuffling_kernelPhPKhjj
; %bb.0:
	s_load_dword s7, s[4:5], 0x24
	s_load_dwordx4 s[0:3], s[4:5], 0x0
	s_load_dwordx2 s[8:9], s[4:5], 0x10
	v_mov_b32_e32 v3, 0
	s_waitcnt lgkmcnt(0)
	s_and_b32 s4, s7, 0xffff
	s_mul_i32 s6, s6, s4
	v_add_u32_e32 v2, s6, v0
	v_mov_b32_e32 v1, s1
	v_add_co_u32_e32 v0, vcc, s0, v2
	v_addc_co_u32_e32 v1, vcc, 0, v1, vcc
	s_cmp_eq_u32 s8, 0
	s_mov_b32 s7, 0
	s_cbranch_scc1 .LBB0_4
; %bb.1:
	s_mov_b32 s6, s8
	s_mov_b64 s[4:5], s[6:7]
	s_mov_b32 s6, s9
	v_pk_mov_b32 v[4:5], 0, 0
	v_mov_b32_e32 v8, s7
	v_pk_mov_b32 v[6:7], v[0:1], v[0:1] op_sel:[0,1]
.LBB0_2:                                ; =>This Inner Loop Header: Depth=1
	global_load_ubyte v9, v3, s[2:3]
	s_add_u32 s4, s4, -1
	s_addc_u32 s5, s5, -1
	s_add_u32 s2, s2, 1
	s_addc_u32 s3, s3, 0
	s_cmp_lg_u64 s[4:5], 0
	s_waitcnt vmcnt(0)
	v_add_co_u32_sdwa v4, vcc, v4, v9 dst_sel:DWORD dst_unused:UNUSED_PAD src0_sel:DWORD src1_sel:BYTE_0
	v_addc_co_u32_e32 v5, vcc, 0, v5, vcc
	global_store_byte v[6:7], v9, off
	v_add_co_u32_e32 v6, vcc, s6, v6
	v_addc_co_u32_e32 v7, vcc, v7, v8, vcc
	s_cbranch_scc1 .LBB0_2
; %bb.3:
	s_add_i32 s2, s8, -1
	s_cmp_eq_u32 s2, 0
	s_mov_b32 s3, 0
	s_cbranch_scc0 .LBB0_5
	s_branch .LBB0_9
.LBB0_4:
	v_pk_mov_b32 v[4:5], 0, 0
	s_add_i32 s2, s8, -1
	s_cmp_eq_u32 s2, 0
	s_mov_b32 s3, 0
	s_cbranch_scc1 .LBB0_9
.LBB0_5:
	s_mul_i32 s6, s9, s2
	s_mul_hi_u32 s5, s9, s2
	s_add_u32 s0, s0, s6
	s_addc_u32 s1, s1, s5
	s_sub_u32 s5, 0, s9
	v_xor_b32_e32 v4, v4, v2
	v_mov_b32_e32 v3, s1
	v_add_co_u32_e32 v2, vcc, s0, v2
	s_subb_u32 s0, 0, 0
	v_xor_b32_e32 v5, 0, v5
	s_mov_b32 s4, s9
	v_addc_co_u32_e32 v3, vcc, 0, v3, vcc
	s_mov_b32 s6, 0xe48e2825
	s_mov_b32 s7, 0x26f19d38
	v_mov_b32_e32 v7, 0
	v_mov_b32_e32 v10, s0
	s_branch .LBB0_7
.LBB0_6:                                ;   in Loop: Header=BB0_7 Depth=1
	s_or_b64 exec, exec, s[0:1]
	v_mad_u64_u32 v[12:13], s[0:1], v6, s4, v[0:1]
	global_load_ubyte v6, v[2:3], off
	global_load_ubyte v11, v[12:13], off
	v_mul_lo_u32 v4, v4, s7
	v_mul_lo_u32 v5, v5, s6
	s_add_u32 s2, s2, -1
	v_add3_u32 v9, v5, v9, v4
	s_addc_u32 s3, s3, -1
	s_cmp_lg_u64 s[2:3], 0
	v_pk_mov_b32 v[4:5], v[8:9], v[8:9] op_sel:[0,1]
	s_waitcnt vmcnt(1)
	global_store_byte v[12:13], v6, off
	s_waitcnt vmcnt(1)
	global_store_byte v[2:3], v11, off
	v_add_co_u32_e32 v2, vcc, s5, v2
	v_addc_co_u32_e32 v3, vcc, v3, v10, vcc
	s_cbranch_scc0 .LBB0_9
.LBB0_7:                                ; =>This Inner Loop Header: Depth=1
	v_mad_u64_u32 v[8:9], s[0:1], v4, s6, 1
	v_mov_b32_e32 v6, v8
	v_cmp_le_u64_e32 vcc, s[2:3], v[6:7]
	s_and_saveexec_b64 s[0:1], vcc
	s_cbranch_execz .LBB0_6
; %bb.8:                                ;   in Loop: Header=BB0_7 Depth=1
	v_cvt_f32_u32_e32 v11, s2
	s_sub_i32 s8, 0, s2
	v_rcp_iflag_f32_e32 v11, v11
	v_mul_f32_e32 v11, 0x4f7ffffe, v11
	v_cvt_u32_f32_e32 v11, v11
	v_mul_lo_u32 v12, s8, v11
	v_mul_hi_u32 v12, v11, v12
	v_add_u32_e32 v11, v11, v12
	v_mul_hi_u32 v11, v6, v11
	v_mul_lo_u32 v11, v11, s2
	v_sub_u32_e32 v6, v6, v11
	v_subrev_u32_e32 v11, s2, v6
	v_cmp_le_u32_e32 vcc, s2, v6
	v_cndmask_b32_e32 v6, v6, v11, vcc
	v_subrev_u32_e32 v11, s2, v6
	v_cmp_le_u32_e32 vcc, s2, v6
	v_cndmask_b32_e32 v6, v6, v11, vcc
	s_branch .LBB0_6
.LBB0_9:
	s_endpgm
	.section	.rodata,"a",@progbits
	.p2align	6, 0x0
	.amdhsa_kernel _Z16shuffling_kernelPhPKhjj
		.amdhsa_group_segment_fixed_size 0
		.amdhsa_private_segment_fixed_size 0
		.amdhsa_kernarg_size 280
		.amdhsa_user_sgpr_count 6
		.amdhsa_user_sgpr_private_segment_buffer 1
		.amdhsa_user_sgpr_dispatch_ptr 0
		.amdhsa_user_sgpr_queue_ptr 0
		.amdhsa_user_sgpr_kernarg_segment_ptr 1
		.amdhsa_user_sgpr_dispatch_id 0
		.amdhsa_user_sgpr_flat_scratch_init 0
		.amdhsa_user_sgpr_kernarg_preload_length 0
		.amdhsa_user_sgpr_kernarg_preload_offset 0
		.amdhsa_user_sgpr_private_segment_size 0
		.amdhsa_uses_dynamic_stack 0
		.amdhsa_system_sgpr_private_segment_wavefront_offset 0
		.amdhsa_system_sgpr_workgroup_id_x 1
		.amdhsa_system_sgpr_workgroup_id_y 0
		.amdhsa_system_sgpr_workgroup_id_z 0
		.amdhsa_system_sgpr_workgroup_info 0
		.amdhsa_system_vgpr_workitem_id 0
		.amdhsa_next_free_vgpr 14
		.amdhsa_next_free_sgpr 10
		.amdhsa_accum_offset 16
		.amdhsa_reserve_vcc 1
		.amdhsa_reserve_flat_scratch 0
		.amdhsa_float_round_mode_32 0
		.amdhsa_float_round_mode_16_64 0
		.amdhsa_float_denorm_mode_32 3
		.amdhsa_float_denorm_mode_16_64 3
		.amdhsa_dx10_clamp 1
		.amdhsa_ieee_mode 1
		.amdhsa_fp16_overflow 0
		.amdhsa_tg_split 0
		.amdhsa_exception_fp_ieee_invalid_op 0
		.amdhsa_exception_fp_denorm_src 0
		.amdhsa_exception_fp_ieee_div_zero 0
		.amdhsa_exception_fp_ieee_overflow 0
		.amdhsa_exception_fp_ieee_underflow 0
		.amdhsa_exception_fp_ieee_inexact 0
		.amdhsa_exception_int_div_zero 0
	.end_amdhsa_kernel
	.text
.Lfunc_end0:
	.size	_Z16shuffling_kernelPhPKhjj, .Lfunc_end0-_Z16shuffling_kernelPhPKhjj
                                        ; -- End function
	.section	.AMDGPU.csdata,"",@progbits
; Kernel info:
; codeLenInByte = 516
; NumSgprs: 14
; NumVgprs: 14
; NumAgprs: 0
; TotalNumVgprs: 14
; ScratchSize: 0
; MemoryBound: 0
; FloatMode: 240
; IeeeMode: 1
; LDSByteSize: 0 bytes/workgroup (compile time only)
; SGPRBlocks: 1
; VGPRBlocks: 1
; NumSGPRsForWavesPerEU: 14
; NumVGPRsForWavesPerEU: 14
; AccumOffset: 16
; Occupancy: 8
; WaveLimiterHint : 0
; COMPUTE_PGM_RSRC2:SCRATCH_EN: 0
; COMPUTE_PGM_RSRC2:USER_SGPR: 6
; COMPUTE_PGM_RSRC2:TRAP_HANDLER: 0
; COMPUTE_PGM_RSRC2:TGID_X_EN: 1
; COMPUTE_PGM_RSRC2:TGID_Y_EN: 0
; COMPUTE_PGM_RSRC2:TGID_Z_EN: 0
; COMPUTE_PGM_RSRC2:TIDIG_COMP_CNT: 0
; COMPUTE_PGM_RSRC3_GFX90A:ACCUM_OFFSET: 3
; COMPUTE_PGM_RSRC3_GFX90A:TG_SPLIT: 0
	.text
	.protected	_Z24statistical_tests_kernelPjPKdddPKhjjjj ; -- Begin function _Z24statistical_tests_kernelPjPKdddPKhjjjj
	.globl	_Z24statistical_tests_kernelPjPKdddPKhjjjj
	.p2align	8
	.type	_Z24statistical_tests_kernelPjPKdddPKhjjjj,@function
_Z24statistical_tests_kernelPjPKdddPKhjjjj: ; @_Z24statistical_tests_kernelPjPKdddPKhjjjj
; %bb.0:
	s_load_dwordx4 s[20:23], s[4:5], 0x28
	s_load_dwordx2 s[6:7], s[4:5], 0x20
	s_add_u32 s0, s0, s9
	s_addc_u32 s1, s1, 0
	s_load_dwordx8 s[12:19], s[4:5], 0x0
	s_load_dword s9, s[4:5], 0x44
	s_waitcnt lgkmcnt(0)
	v_cvt_f32_u32_e32 v1, s23
	s_sub_i32 s4, 0, s23
	v_rcp_iflag_f32_e32 v1, v1
	v_mul_f32_e32 v1, 0x4f7ffffe, v1
	v_cvt_u32_f32_e32 v1, v1
	v_readfirstlane_b32 s5, v1
	s_mul_i32 s4, s4, s5
	s_mul_hi_u32 s4, s5, s4
	s_add_i32 s5, s5, s4
	s_mul_hi_u32 s4, s8, s5
	s_mul_i32 s5, s4, s23
	s_sub_i32 s5, s8, s5
	s_add_i32 s10, s4, 1
	s_sub_i32 s11, s5, s23
	s_cmp_ge_u32 s5, s23
	s_cselect_b32 s4, s10, s4
	s_cselect_b32 s5, s11, s5
	s_add_i32 s10, s4, 1
	s_cmp_ge_u32 s5, s23
	s_cselect_b32 s4, s10, s4
	s_and_b32 s5, s9, 0xffff
	s_mul_i32 s9, s4, s23
	s_sub_i32 s9, s8, s9
	s_mul_i32 s9, s9, s5
	s_cmp_ge_u32 s8, s23
	v_add_u32_e32 v14, s9, v0
	s_cbranch_scc0 .LBB1_5
; %bb.1:
	s_cmp_eq_u32 s4, 1
	s_mov_b64 s[4:5], 0
	s_cbranch_scc0 .LBB1_6
; %bb.2:
	s_cmp_eq_u32 s21, 0
	s_mov_b32 s9, 0
	s_cbranch_scc1 .LBB1_7
; %bb.3:
	v_mov_b32_e32 v0, s7
	v_add_co_u32_e32 v2, vcc, s6, v14
	v_pk_mov_b32 v[4:5], 0, 0
	s_mov_b32 s8, s21
	v_addc_co_u32_e32 v3, vcc, 0, v0, vcc
	s_mov_b64 s[10:11], 0
	v_mov_b32_e32 v6, s9
	v_pk_mov_b32 v[0:1], v[4:5], v[4:5] op_sel:[0,1]
	s_mov_b32 s23, s9
.LBB1_4:                                ; =>This Inner Loop Header: Depth=1
	global_load_ubyte v7, v[2:3], off
	s_add_u32 s10, s10, 1
	s_addc_u32 s11, s11, 0
	v_cvt_f64_u32_e32 v[10:11], s11
	v_cvt_f64_u32_e32 v[8:9], s10
	v_ldexp_f64 v[10:11], v[10:11], 32
	v_add_f64 v[8:9], v[10:11], v[8:9]
	v_add_co_u32_e32 v2, vcc, s22, v2
	v_addc_co_u32_e32 v3, vcc, v3, v6, vcc
	s_cmp_lg_u64 s[8:9], s[10:11]
	s_waitcnt vmcnt(0)
	v_cvt_f64_u32_e32 v[10:11], v7
	v_add_f64 v[4:5], v[4:5], v[10:11]
	v_fma_f64 v[8:9], -v[8:9], s[16:17], v[4:5]
	v_and_b32_e32 v7, 0x7fffffff, v9
	v_cmp_lt_f64_e64 vcc, v[0:1], |v[8:9]|
	v_cndmask_b32_e32 v1, v1, v7, vcc
	v_cndmask_b32_e32 v0, v0, v8, vcc
	s_cbranch_scc1 .LBB1_4
	s_branch .LBB1_8
.LBB1_5:
	s_mov_b64 s[8:9], 0
                                        ; implicit-def: $vgpr0_vgpr1
	s_cbranch_execnz .LBB1_54
	s_branch .LBB1_72
.LBB1_6:
                                        ; implicit-def: $vgpr0_vgpr1
	s_mov_b64 s[8:9], 0
	s_and_b64 vcc, exec, s[4:5]
	s_cbranch_vccnz .LBB1_54
	s_branch .LBB1_72
.LBB1_7:
	v_pk_mov_b32 v[0:1], 0, 0
.LBB1_8:
	s_load_dwordx2 s[8:9], s[14:15], 0x0
	v_cvt_f32_f64_e32 v2, v[0:1]
	v_pk_mov_b32 v[0:1], s[12:13], s[12:13] op_sel:[0,1]
	s_waitcnt lgkmcnt(0)
	v_cvt_f32_f64_e32 v3, s[8:9]
	v_cmp_ngt_f32_e32 vcc, v2, v3
	s_and_saveexec_b64 s[8:9], vcc
	s_cbranch_execz .LBB1_14
; %bb.9:
	v_cmp_neq_f32_e32 vcc, v2, v3
                                        ; implicit-def: $sgpr10_sgpr11
	s_and_saveexec_b64 s[16:17], vcc
	s_xor_b64 s[16:17], exec, s[16:17]
; %bb.10:
	s_add_u32 s10, s12, 8
	s_addc_u32 s11, s13, 0
; %bb.11:
	s_or_saveexec_b64 s[16:17], s[16:17]
	v_pk_mov_b32 v[0:1], s[10:11], s[10:11] op_sel:[0,1]
	s_xor_b64 exec, exec, s[16:17]
; %bb.12:
	s_add_u32 s10, s12, 4
	s_addc_u32 s11, s13, 0
	v_pk_mov_b32 v[0:1], s[10:11], s[10:11] op_sel:[0,1]
; %bb.13:
	s_or_b64 exec, exec, s[16:17]
.LBB1_14:
	s_or_b64 exec, exec, s[8:9]
	v_mov_b32_e32 v16, 1
	global_atomic_add v[0:1], v16, off
	v_add_u32_e32 v0, s22, v14
	global_load_ubyte v2, v14, s[6:7]
	global_load_ubyte v3, v0, s[6:7]
	v_mov_b32_e32 v1, s7
	s_add_i32 s8, s21, -1
	v_mov_b32_e32 v10, 0
	v_add_co_u32_e32 v0, vcc, s6, v14
	s_mov_b32 s9, 0
	v_mov_b32_e32 v15, 0
	v_mov_b32_e32 v11, 0x3ff00000
	v_addc_co_u32_e32 v1, vcc, 0, v1, vcc
	s_cmp_lt_u32 s8, 2
	s_waitcnt vmcnt(0)
	v_cmp_le_u16_e64 s[16:17], v2, v3
	v_and_b32_e32 v2, 0xffff, v2
	v_cvt_f64_u32_e32 v[2:3], v2
	v_cmp_le_f64_e64 s[28:29], s[18:19], v[2:3]
	v_pk_mov_b32 v[2:3], 0, 0
	s_cbranch_scc1 .LBB1_30
; %bb.15:
	s_mov_b32 s23, s9
	s_add_u32 s24, s8, -1
	v_mov_b32_e32 v8, 0
	s_addc_u32 s25, 0, -1
	s_lshl_b64 s[26:27], s[22:23], 1
	v_mov_b32_e32 v9, 0x3ff00000
	v_pk_mov_b32 v[6:7], 0, 0
	v_mov_b32_e32 v15, 0
	v_mov_b32_e32 v17, s9
	;; [unrolled: 1-line block ×3, first 2 shown]
	v_pk_mov_b32 v[10:11], v[0:1], v[0:1] op_sel:[0,1]
	v_pk_mov_b32 v[4:5], v[8:9], v[8:9] op_sel:[0,1]
	;; [unrolled: 1-line block ×3, first 2 shown]
	v_mov_b32_e32 v19, 1
.LBB1_16:                               ; =>This Inner Loop Header: Depth=1
	v_pk_mov_b32 v[12:13], v[10:11], v[10:11] op_sel:[0,1]
	v_add_co_u32_e32 v10, vcc, s22, v12
	v_addc_co_u32_e32 v11, vcc, v13, v17, vcc
	v_add_co_u32_e32 v12, vcc, s26, v12
	v_addc_co_u32_e32 v13, vcc, v13, v18, vcc
	global_load_ubyte v20, v[10:11], off
	global_load_ubyte v21, v[12:13], off
	s_waitcnt vmcnt(0)
	v_cmp_le_u16_e64 s[10:11], v20, v21
	s_xor_b64 s[30:31], s[16:17], s[10:11]
	s_xor_b64 s[30:31], s[30:31], -1
	s_and_saveexec_b64 s[34:35], s[30:31]
	s_xor_b64 s[30:31], exec, s[34:35]
; %bb.17:                               ;   in Loop: Header=BB1_16 Depth=1
	v_add_u32_e32 v19, 1, v19
; %bb.18:                               ;   in Loop: Header=BB1_16 Depth=1
	s_andn2_saveexec_b64 s[30:31], s[30:31]
	s_cbranch_execz .LBB1_22
; %bb.19:                               ;   in Loop: Header=BB1_16 Depth=1
	v_cvt_f64_u32_e32 v[12:13], v19
	v_cmp_lt_f64_e32 vcc, v[6:7], v[12:13]
	s_and_saveexec_b64 s[34:35], vcc
; %bb.20:                               ;   in Loop: Header=BB1_16 Depth=1
	v_pk_mov_b32 v[6:7], v[12:13], v[12:13] op_sel:[0,1]
; %bb.21:                               ;   in Loop: Header=BB1_16 Depth=1
	s_or_b64 exec, exec, s[34:35]
	v_add_f64 v[8:9], v[8:9], 1.0
	v_mov_b32_e32 v19, 1
.LBB1_22:                               ;   in Loop: Header=BB1_16 Depth=1
	s_or_b64 exec, exec, s[30:31]
	v_and_b32_e32 v12, 0xffff, v20
	v_cvt_f64_u32_e32 v[12:13], v12
	v_cmp_le_f64_e64 s[30:31], s[18:19], v[12:13]
	s_xor_b64 s[28:29], s[28:29], s[30:31]
	s_xor_b64 s[28:29], s[28:29], -1
	s_and_saveexec_b64 s[34:35], s[28:29]
	s_xor_b64 s[28:29], exec, s[34:35]
; %bb.23:                               ;   in Loop: Header=BB1_16 Depth=1
	v_add_u32_e32 v16, 1, v16
; %bb.24:                               ;   in Loop: Header=BB1_16 Depth=1
	s_andn2_saveexec_b64 s[28:29], s[28:29]
	s_cbranch_execz .LBB1_28
; %bb.25:                               ;   in Loop: Header=BB1_16 Depth=1
	v_cvt_f64_u32_e32 v[12:13], v16
	v_cmp_lt_f64_e32 vcc, v[2:3], v[12:13]
	s_and_saveexec_b64 s[34:35], vcc
; %bb.26:                               ;   in Loop: Header=BB1_16 Depth=1
	v_pk_mov_b32 v[2:3], v[12:13], v[12:13] op_sel:[0,1]
; %bb.27:                               ;   in Loop: Header=BB1_16 Depth=1
	s_or_b64 exec, exec, s[34:35]
	v_add_f64 v[4:5], v[4:5], 1.0
	v_mov_b32_e32 v16, 1
.LBB1_28:                               ;   in Loop: Header=BB1_16 Depth=1
	s_or_b64 exec, exec, s[28:29]
	s_add_u32 s24, s24, -1
	v_cndmask_b32_e64 v12, 0, 1, s[16:17]
	s_addc_u32 s25, s25, -1
	s_cmp_lg_u64 s[24:25], 0
	v_add_u32_e32 v15, v15, v12
	s_cbranch_scc0 .LBB1_31
; %bb.29:                               ;   in Loop: Header=BB1_16 Depth=1
	s_mov_b64 s[16:17], s[10:11]
	s_mov_b64 s[28:29], s[30:31]
	s_branch .LBB1_16
.LBB1_30:
	s_mov_b64 s[10:11], s[16:17]
	s_mov_b64 s[30:31], s[28:29]
	v_pk_mov_b32 v[4:5], v[10:11], v[10:11] op_sel:[0,1]
	v_pk_mov_b32 v[6:7], v[2:3], v[2:3] op_sel:[0,1]
	;; [unrolled: 1-line block ×3, first 2 shown]
	s_branch .LBB1_32
.LBB1_31:
	v_cvt_f64_u32_e32 v[10:11], v16
.LBB1_32:
	s_mul_i32 s16, s8, s22
	v_add_u32_e32 v12, s16, v14
	global_load_ubyte v12, v12, s[6:7]
	s_waitcnt vmcnt(0)
	v_cvt_f64_u32_e32 v[12:13], v12
	v_cmp_nle_f64_e32 vcc, s[18:19], v[12:13]
	s_xor_b64 s[16:17], s[30:31], vcc
	s_xor_b64 s[18:19], s[16:17], -1
	s_and_saveexec_b64 s[16:17], s[18:19]
	s_cbranch_execz .LBB1_36
; %bb.33:
	v_cmp_lt_f64_e32 vcc, v[2:3], v[10:11]
	s_and_saveexec_b64 s[18:19], vcc
; %bb.34:
	v_pk_mov_b32 v[2:3], v[10:11], v[10:11] op_sel:[0,1]
; %bb.35:
	s_or_b64 exec, exec, s[18:19]
	v_add_f64 v[4:5], v[4:5], 1.0
.LBB1_36:
	s_or_b64 exec, exec, s[16:17]
	v_mov_b32_e32 v12, 0
	global_load_dwordx2 v[10:11], v12, s[14:15] offset:8
	v_mov_b32_e32 v13, s13
	v_mov_b32_e32 v16, 1
	s_cmp_eq_u32 s21, 1
	s_waitcnt vmcnt(0)
	v_cmp_eq_f64_e32 vcc, v[8:9], v[10:11]
	v_cndmask_b32_e64 v17, 20, 16, vcc
	v_cmp_ngt_f64_e32 vcc, v[8:9], v[10:11]
	v_cndmask_b32_e32 v8, 12, v17, vcc
	v_add_co_u32_e32 v8, vcc, s12, v8
	v_addc_co_u32_e32 v9, vcc, 0, v13, vcc
	global_atomic_add v[8:9], v16, off
	global_load_dwordx2 v[8:9], v12, s[14:15] offset:16
	v_mov_b32_e32 v10, s13
	s_waitcnt vmcnt(0)
	v_cmp_eq_f64_e32 vcc, v[6:7], v[8:9]
	v_cndmask_b32_e64 v11, 32, 28, vcc
	v_cmp_ngt_f64_e32 vcc, v[6:7], v[8:9]
	v_cndmask_b32_e32 v6, 24, v11, vcc
	v_add_co_u32_e32 v6, vcc, s12, v6
	v_addc_co_u32_e32 v7, vcc, 0, v10, vcc
	global_atomic_add v[6:7], v16, off
	global_load_dwordx2 v[6:7], v12, s[14:15] offset:24
	v_cndmask_b32_e64 v8, 0, 1, s[10:11]
	v_add_u32_e32 v8, v15, v8
	v_sub_u32_e32 v9, s21, v8
	v_max_u32_e32 v8, v8, v9
	v_cvt_f64_u32_e32 v[8:9], v8
	s_mov_b32 s10, 0
	s_waitcnt vmcnt(0)
	v_cmp_eq_f64_e32 vcc, v[6:7], v[8:9]
	v_cndmask_b32_e64 v11, 44, 40, vcc
	v_cmp_nlt_f64_e32 vcc, v[6:7], v[8:9]
	v_cndmask_b32_e32 v6, 36, v11, vcc
	v_add_co_u32_e32 v6, vcc, s12, v6
	v_addc_co_u32_e32 v7, vcc, 0, v10, vcc
	global_atomic_add v[6:7], v16, off
	global_load_dwordx2 v[6:7], v12, s[14:15] offset:32
	v_mov_b32_e32 v8, s13
	s_waitcnt vmcnt(0)
	v_cmp_eq_f64_e32 vcc, v[4:5], v[6:7]
	v_cndmask_b32_e64 v9, 56, 52, vcc
	v_cmp_ngt_f64_e32 vcc, v[4:5], v[6:7]
	v_cndmask_b32_e32 v4, 48, v9, vcc
	v_add_co_u32_e32 v4, vcc, s12, v4
	v_addc_co_u32_e32 v5, vcc, 0, v8, vcc
	global_atomic_add v[4:5], v16, off
	global_load_dwordx2 v[4:5], v12, s[14:15] offset:40
	v_mov_b32_e32 v6, 0x44
	v_mov_b32_e32 v7, s13
	s_waitcnt vmcnt(0)
	v_cmp_eq_f64_e32 vcc, v[2:3], v[4:5]
	v_cndmask_b32_e64 v6, v6, 64, vcc
	v_cmp_ngt_f64_e32 vcc, v[2:3], v[4:5]
	v_cndmask_b32_e32 v2, 60, v6, vcc
	v_add_co_u32_e32 v2, vcc, s12, v2
	v_addc_co_u32_e32 v3, vcc, 0, v7, vcc
	global_atomic_add v[2:3], v16, off
	v_pk_mov_b32 v[2:3], 0, 0
	v_pk_mov_b32 v[4:5], v[2:3], v[2:3] op_sel:[0,1]
	s_cbranch_scc1 .LBB1_39
; %bb.37:
	global_load_ubyte v8, v[0:1], off
	v_pk_mov_b32 v[2:3], 0, 0
	v_mov_b32_e32 v9, s10
	v_pk_mov_b32 v[6:7], v[0:1], v[0:1] op_sel:[0,1]
	v_pk_mov_b32 v[4:5], v[2:3], v[2:3] op_sel:[0,1]
.LBB1_38:                               ; =>This Inner Loop Header: Depth=1
	v_add_co_u32_e32 v6, vcc, s22, v6
	v_addc_co_u32_e32 v7, vcc, v7, v9, vcc
	global_load_ubyte v12, v[6:7], off
	v_add_f64 v[10:11], v[4:5], 1.0
	s_add_u32 s8, s8, -1
	s_addc_u32 s9, s9, -1
	s_cmp_lg_u64 s[8:9], 0
	s_waitcnt vmcnt(0)
	v_cmp_eq_u16_sdwa vcc, v8, v12 src0_sel:BYTE_0 src1_sel:DWORD
	v_cndmask_b32_e32 v5, v5, v11, vcc
	v_mul_u32_u24_sdwa v11, v12, v8 dst_sel:DWORD dst_unused:UNUSED_PAD src0_sel:WORD_0 src1_sel:BYTE_0
	v_cndmask_b32_e32 v4, v4, v10, vcc
	v_cvt_f64_u32_e32 v[10:11], v11
	v_mov_b32_e32 v8, v12
	v_add_f64 v[2:3], v[2:3], v[10:11]
	s_cbranch_scc1 .LBB1_38
.LBB1_39:
	v_mov_b32_e32 v8, 0
	global_load_dwordx2 v[6:7], v8, s[14:15] offset:64
	v_mov_b32_e32 v9, 0x68
	v_mov_b32_e32 v10, 0x64
	v_mov_b32_e32 v11, 0x60
	v_mov_b32_e32 v12, s13
	v_mov_b32_e32 v13, 1
	s_mov_b32 s23, 0
	s_cmp_eq_u32 s21, 2
	s_waitcnt vmcnt(0)
	v_cmp_eq_f64_e32 vcc, v[4:5], v[6:7]
	v_cndmask_b32_e32 v9, v9, v10, vcc
	v_cmp_ngt_f64_e32 vcc, v[4:5], v[6:7]
	v_cndmask_b32_e32 v4, v11, v9, vcc
	v_add_co_u32_e32 v4, vcc, s12, v4
	v_addc_co_u32_e32 v5, vcc, 0, v12, vcc
	global_atomic_add v[4:5], v13, off
	global_load_dwordx2 v[4:5], v8, s[14:15] offset:104
	v_mov_b32_e32 v6, 0xa4
	v_mov_b32_e32 v7, 0xa0
	v_mov_b32_e32 v8, 0x9c
	v_mov_b32_e32 v9, s13
	s_waitcnt vmcnt(0)
	v_cmp_eq_f64_e32 vcc, v[2:3], v[4:5]
	v_cndmask_b32_e32 v6, v6, v7, vcc
	v_cmp_ngt_f64_e32 vcc, v[2:3], v[4:5]
	v_cndmask_b32_e32 v2, v8, v6, vcc
	v_add_co_u32_e32 v2, vcc, s12, v2
	v_addc_co_u32_e32 v3, vcc, 0, v9, vcc
	global_atomic_add v[2:3], v13, off
	v_pk_mov_b32 v[2:3], 0, 0
	v_pk_mov_b32 v[4:5], v[2:3], v[2:3] op_sel:[0,1]
	s_cbranch_scc1 .LBB1_42
; %bb.40:
	s_lshl_b64 s[10:11], s[22:23], 1
	v_pk_mov_b32 v[2:3], 0, 0
	s_add_i32 s8, s21, -2
	s_mov_b32 s9, s23
	v_mov_b32_e32 v8, s11
	v_mov_b32_e32 v9, s23
	v_pk_mov_b32 v[6:7], v[0:1], v[0:1] op_sel:[0,1]
	v_pk_mov_b32 v[4:5], v[2:3], v[2:3] op_sel:[0,1]
.LBB1_41:                               ; =>This Inner Loop Header: Depth=1
	v_add_co_u32_e32 v10, vcc, s10, v6
	v_addc_co_u32_e32 v11, vcc, v7, v8, vcc
	global_load_ubyte v12, v[6:7], off
	global_load_ubyte v13, v[10:11], off
	v_add_co_u32_e32 v6, vcc, s22, v6
	v_addc_co_u32_e32 v7, vcc, v7, v9, vcc
	v_add_f64 v[10:11], v[4:5], 1.0
	s_add_u32 s8, s8, -1
	s_addc_u32 s9, s9, -1
	s_cmp_lg_u64 s[8:9], 0
	s_waitcnt vmcnt(0)
	v_cmp_eq_u16_e32 vcc, v12, v13
	v_cndmask_b32_e32 v5, v5, v11, vcc
	v_mul_u32_u24_sdwa v11, v13, v12 dst_sel:DWORD dst_unused:UNUSED_PAD src0_sel:WORD_0 src1_sel:WORD_0
	v_cndmask_b32_e32 v4, v4, v10, vcc
	v_cvt_f64_u32_e32 v[10:11], v11
	v_add_f64 v[2:3], v[2:3], v[10:11]
	s_cbranch_scc1 .LBB1_41
.LBB1_42:
	v_mov_b32_e32 v8, 0
	global_load_dwordx2 v[6:7], v8, s[14:15] offset:72
	v_mov_b32_e32 v9, 0x74
	v_mov_b32_e32 v10, 0x70
	v_mov_b32_e32 v11, 0x6c
	v_mov_b32_e32 v12, s13
	v_mov_b32_e32 v13, 1
	s_mov_b32 s23, 0
	s_cmp_eq_u32 s21, 8
	s_waitcnt vmcnt(0)
	v_cmp_eq_f64_e32 vcc, v[4:5], v[6:7]
	v_cndmask_b32_e32 v9, v9, v10, vcc
	v_cmp_ngt_f64_e32 vcc, v[4:5], v[6:7]
	v_cndmask_b32_e32 v4, v11, v9, vcc
	v_add_co_u32_e32 v4, vcc, s12, v4
	v_addc_co_u32_e32 v5, vcc, 0, v12, vcc
	global_atomic_add v[4:5], v13, off
	global_load_dwordx2 v[4:5], v8, s[14:15] offset:112
	v_mov_b32_e32 v6, 0xb0
	v_mov_b32_e32 v7, 0xac
	v_mov_b32_e32 v8, 0xa8
	v_mov_b32_e32 v9, s13
	s_waitcnt vmcnt(0)
	v_cmp_eq_f64_e32 vcc, v[2:3], v[4:5]
	v_cndmask_b32_e32 v6, v6, v7, vcc
	v_cmp_ngt_f64_e32 vcc, v[2:3], v[4:5]
	v_cndmask_b32_e32 v2, v8, v6, vcc
	v_add_co_u32_e32 v2, vcc, s12, v2
	v_addc_co_u32_e32 v3, vcc, 0, v9, vcc
	global_atomic_add v[2:3], v13, off
	v_pk_mov_b32 v[2:3], 0, 0
	v_pk_mov_b32 v[4:5], v[2:3], v[2:3] op_sel:[0,1]
	s_cbranch_scc1 .LBB1_45
; %bb.43:
	s_lshl_b64 s[10:11], s[22:23], 3
	v_pk_mov_b32 v[2:3], 0, 0
	s_add_i32 s8, s21, -8
	s_mov_b32 s9, s23
	v_mov_b32_e32 v8, s11
	v_mov_b32_e32 v9, s23
	v_pk_mov_b32 v[6:7], v[0:1], v[0:1] op_sel:[0,1]
	v_pk_mov_b32 v[4:5], v[2:3], v[2:3] op_sel:[0,1]
.LBB1_44:                               ; =>This Inner Loop Header: Depth=1
	v_add_co_u32_e32 v10, vcc, s10, v6
	v_addc_co_u32_e32 v11, vcc, v7, v8, vcc
	global_load_ubyte v12, v[6:7], off
	global_load_ubyte v13, v[10:11], off
	v_add_co_u32_e32 v6, vcc, s22, v6
	v_addc_co_u32_e32 v7, vcc, v7, v9, vcc
	v_add_f64 v[10:11], v[4:5], 1.0
	s_add_u32 s8, s8, -1
	s_addc_u32 s9, s9, -1
	s_cmp_lg_u64 s[8:9], 0
	s_waitcnt vmcnt(0)
	v_cmp_eq_u16_e32 vcc, v12, v13
	v_cndmask_b32_e32 v5, v5, v11, vcc
	v_mul_u32_u24_sdwa v11, v13, v12 dst_sel:DWORD dst_unused:UNUSED_PAD src0_sel:WORD_0 src1_sel:WORD_0
	v_cndmask_b32_e32 v4, v4, v10, vcc
	v_cvt_f64_u32_e32 v[10:11], v11
	v_add_f64 v[2:3], v[2:3], v[10:11]
	s_cbranch_scc1 .LBB1_44
.LBB1_45:
	;; [unrolled: 62-line block ×3, first 2 shown]
	v_mov_b32_e32 v8, 0
	global_load_dwordx2 v[6:7], v8, s[14:15] offset:88
	v_mov_b32_e32 v9, 0x8c
	v_mov_b32_e32 v10, 0x88
	;; [unrolled: 1-line block ×5, first 2 shown]
	s_mov_b32 s23, 0
	s_cmp_eq_u32 s21, 32
	s_waitcnt vmcnt(0)
	v_cmp_eq_f64_e32 vcc, v[4:5], v[6:7]
	v_cndmask_b32_e32 v9, v9, v10, vcc
	v_cmp_ngt_f64_e32 vcc, v[4:5], v[6:7]
	v_cndmask_b32_e32 v4, v11, v9, vcc
	v_add_co_u32_e32 v4, vcc, s12, v4
	v_addc_co_u32_e32 v5, vcc, 0, v12, vcc
	global_atomic_add v[4:5], v13, off
	global_load_dwordx2 v[4:5], v8, s[14:15] offset:128
	v_mov_b32_e32 v6, 0xc8
	v_mov_b32_e32 v7, 0xc4
	;; [unrolled: 1-line block ×4, first 2 shown]
	s_waitcnt vmcnt(0)
	v_cmp_eq_f64_e32 vcc, v[2:3], v[4:5]
	v_cndmask_b32_e32 v6, v6, v7, vcc
	v_cmp_ngt_f64_e32 vcc, v[2:3], v[4:5]
	v_cndmask_b32_e32 v2, v8, v6, vcc
	v_add_co_u32_e32 v2, vcc, s12, v2
	v_addc_co_u32_e32 v3, vcc, 0, v9, vcc
	global_atomic_add v[2:3], v13, off
	v_pk_mov_b32 v[2:3], 0, 0
	v_pk_mov_b32 v[4:5], v[2:3], v[2:3] op_sel:[0,1]
	s_cbranch_scc1 .LBB1_51
; %bb.49:
	s_lshl_b64 s[10:11], s[22:23], 5
	v_pk_mov_b32 v[2:3], 0, 0
	s_sub_i32 s8, s21, 32
	s_mov_b32 s9, s23
	v_mov_b32_e32 v6, s11
	v_mov_b32_e32 v7, s23
	v_pk_mov_b32 v[4:5], v[2:3], v[2:3] op_sel:[0,1]
.LBB1_50:                               ; =>This Inner Loop Header: Depth=1
	v_add_co_u32_e32 v8, vcc, s10, v0
	v_addc_co_u32_e32 v9, vcc, v1, v6, vcc
	global_load_ubyte v10, v[0:1], off
	global_load_ubyte v11, v[8:9], off
	v_add_co_u32_e32 v0, vcc, s22, v0
	v_addc_co_u32_e32 v1, vcc, v1, v7, vcc
	v_add_f64 v[8:9], v[4:5], 1.0
	s_add_u32 s8, s8, -1
	s_addc_u32 s9, s9, -1
	s_cmp_lg_u64 s[8:9], 0
	s_waitcnt vmcnt(0)
	v_cmp_eq_u16_e32 vcc, v10, v11
	v_cndmask_b32_e32 v5, v5, v9, vcc
	v_mul_u32_u24_sdwa v9, v11, v10 dst_sel:DWORD dst_unused:UNUSED_PAD src0_sel:WORD_0 src1_sel:WORD_0
	v_cndmask_b32_e32 v4, v4, v8, vcc
	v_cvt_f64_u32_e32 v[8:9], v9
	v_add_f64 v[2:3], v[2:3], v[8:9]
	s_cbranch_scc1 .LBB1_50
.LBB1_51:
	v_mov_b32_e32 v7, 0
	global_load_dwordx2 v[0:1], v7, s[14:15] offset:96
	v_mov_b32_e32 v6, 0x98
	v_mov_b32_e32 v8, 0x94
	;; [unrolled: 1-line block ×5, first 2 shown]
	s_waitcnt vmcnt(0)
	v_cmp_eq_f64_e32 vcc, v[4:5], v[0:1]
	v_cndmask_b32_e32 v6, v6, v8, vcc
	v_cmp_ngt_f64_e32 vcc, v[4:5], v[0:1]
	v_cndmask_b32_e32 v0, v9, v6, vcc
	v_add_co_u32_e32 v0, vcc, s12, v0
	v_addc_co_u32_e32 v1, vcc, 0, v10, vcc
	global_atomic_add v[0:1], v11, off
	global_load_dwordx2 v[4:5], v7, s[14:15] offset:136
	v_mov_b32_e32 v0, 0xcc
	v_mov_b32_e32 v1, 0
	s_waitcnt vmcnt(0)
	v_cmp_ngt_f64_e32 vcc, v[2:3], v[4:5]
	s_and_saveexec_b64 s[8:9], vcc
; %bb.52:
	v_mov_b32_e32 v0, 0xd4
	v_mov_b32_e32 v1, 0xd0
	v_cmp_eq_f64_e32 vcc, v[2:3], v[4:5]
	v_cndmask_b32_e32 v6, v0, v1, vcc
	v_pk_mov_b32 v[0:1], v[6:7], v[6:7] op_sel:[0,1]
; %bb.53:
	s_or_b64 exec, exec, s[8:9]
	s_mov_b64 s[8:9], -1
	s_and_b64 vcc, exec, s[4:5]
	s_cbranch_vccz .LBB1_72
.LBB1_54:
	v_mov_b32_e32 v1, 0
	s_cmp_eq_u32 s21, 0
	s_mov_b32 s5, 0
	buffer_store_dword v1, off, s[0:3], 0 offset:252
	buffer_store_dword v1, off, s[0:3], 0 offset:248
	;; [unrolled: 1-line block ×63, first 2 shown]
	buffer_store_dword v1, off, s[0:3], 0
	s_cbranch_scc1 .LBB1_68
; %bb.55:
	v_mov_b32_e32 v0, s7
	v_add_co_u32_e32 v4, vcc, s6, v14
	v_pk_mov_b32 v[8:9], 0, 0
	s_mov_b32 s4, s21
	s_lshl_b32 s8, 1, s20
	s_mov_b32 s9, s5
	s_mov_b32 s23, s5
	v_addc_co_u32_e32 v5, vcc, 0, v0, vcc
	s_mov_b64 s[6:7], 0
	v_pk_mov_b32 v[2:3], 0, 0
	v_mov_b32_e32 v14, 1
	v_mov_b32_e32 v0, v1
	;; [unrolled: 1-line block ×3, first 2 shown]
	v_pk_mov_b32 v[6:7], v[8:9], v[8:9] op_sel:[0,1]
	s_branch .LBB1_58
.LBB1_56:                               ;   in Loop: Header=BB1_58 Depth=1
	s_or_b64 exec, exec, s[16:17]
.LBB1_57:                               ;   in Loop: Header=BB1_58 Depth=1
	s_or_b64 exec, exec, s[10:11]
	v_add_co_u32_e32 v6, vcc, 1, v6
	v_addc_co_u32_e32 v7, vcc, 0, v7, vcc
	v_add_co_u32_e32 v10, vcc, v8, v6
	v_addc_co_u32_e32 v11, vcc, v9, v7, vcc
	v_cmp_le_u64_e32 vcc, s[4:5], v[10:11]
	s_or_b64 s[6:7], vcc, s[6:7]
	s_andn2_b64 exec, exec, s[6:7]
	s_cbranch_execz .LBB1_67
.LBB1_58:                               ; =>This Loop Header: Depth=1
                                        ;     Child Loop BB1_59 Depth 2
                                        ;     Child Loop BB1_63 Depth 2
	v_mov_b32_e32 v10, 0
	s_mov_b64 s[10:11], s[8:9]
.LBB1_59:                               ;   Parent Loop BB1_58 Depth=1
                                        ; =>  This Inner Loop Header: Depth=2
	s_add_u32 s10, s10, -1
	s_addc_u32 s11, s11, -1
	buffer_store_byte v1, v10, s[0:3], 0 offen
	s_cmp_eq_u64 s[10:11], 0
	v_add_u32_e32 v10, 1, v10
	s_cbranch_scc0 .LBB1_59
; %bb.60:                               ;   in Loop: Header=BB1_58 Depth=1
	v_add_co_u32_e32 v10, vcc, v6, v8
	v_addc_co_u32_e32 v11, vcc, v7, v9, vcc
	v_cmp_gt_u64_e32 vcc, s[4:5], v[10:11]
	s_and_saveexec_b64 s[10:11], vcc
	s_cbranch_execz .LBB1_57
; %bb.61:                               ;   in Loop: Header=BB1_58 Depth=1
	v_mad_u64_u32 v[12:13], s[16:17], s22, v10, v[4:5]
	v_mov_b32_e32 v10, v13
	v_mad_u64_u32 v[10:11], s[16:17], s22, v11, v[10:11]
	v_mov_b32_e32 v13, v10
	s_mov_b64 s[18:19], 0
                                        ; implicit-def: $sgpr16_sgpr17
                                        ; implicit-def: $sgpr24_sgpr25
                                        ; implicit-def: $sgpr20_sgpr21
	s_branch .LBB1_63
.LBB1_62:                               ;   in Loop: Header=BB1_63 Depth=2
	s_or_b64 exec, exec, s[26:27]
	s_and_b64 s[26:27], exec, s[24:25]
	s_or_b64 s[18:19], s[26:27], s[18:19]
	s_andn2_b64 s[16:17], s[16:17], exec
	s_and_b64 s[26:27], s[20:21], exec
	s_or_b64 s[16:17], s[16:17], s[26:27]
	s_andn2_b64 exec, exec, s[18:19]
	s_cbranch_execz .LBB1_65
.LBB1_63:                               ;   Parent Loop BB1_58 Depth=1
                                        ; =>  This Inner Loop Header: Depth=2
	global_load_ubyte v10, v[12:13], off
	s_or_b64 s[20:21], s[20:21], exec
	s_or_b64 s[24:25], s[24:25], exec
	s_waitcnt vmcnt(0)
	v_add_u32_e32 v16, 0, v10
	buffer_load_ubyte v17, v16, s[0:3], 0 offen
	v_pk_mov_b32 v[10:11], v[8:9], v[8:9] op_sel:[0,1]
	s_waitcnt vmcnt(0)
	v_and_b32_e32 v8, 1, v17
	v_cmp_eq_u32_e32 vcc, 1, v8
	s_xor_b64 s[28:29], vcc, -1
                                        ; implicit-def: $vgpr8_vgpr9
	s_and_saveexec_b64 s[26:27], s[28:29]
	s_cbranch_execz .LBB1_62
; %bb.64:                               ;   in Loop: Header=BB1_63 Depth=2
	v_add_co_u32_e32 v8, vcc, 1, v10
	v_addc_co_u32_e32 v9, vcc, 0, v11, vcc
	buffer_store_byte v14, v16, s[0:3], 0 offen
	v_add_co_u32_e32 v16, vcc, v6, v8
	v_addc_co_u32_e32 v17, vcc, v7, v9, vcc
	v_mov_b32_e32 v18, s23
	v_add_co_u32_e32 v12, vcc, s22, v12
	v_addc_co_u32_e32 v13, vcc, v13, v18, vcc
	v_cmp_le_u64_e32 vcc, s[4:5], v[16:17]
	s_andn2_b64 s[24:25], s[24:25], exec
	s_and_b64 s[28:29], vcc, exec
	s_andn2_b64 s[20:21], s[20:21], exec
	s_or_b64 s[24:25], s[24:25], s[28:29]
	s_branch .LBB1_62
.LBB1_65:                               ;   in Loop: Header=BB1_58 Depth=1
	s_or_b64 exec, exec, s[18:19]
	s_and_saveexec_b64 s[18:19], s[16:17]
	s_xor_b64 s[16:17], exec, s[18:19]
	s_cbranch_execz .LBB1_56
; %bb.66:                               ;   in Loop: Header=BB1_58 Depth=1
	v_add_co_u32_e32 v6, vcc, v6, v10
	v_cvt_f64_u32_e32 v[8:9], v11
	v_addc_co_u32_e32 v7, vcc, v7, v11, vcc
	v_ldexp_f64 v[8:9], v[8:9], 32
	v_cvt_f64_u32_e32 v[12:13], v10
	v_add_f64 v[8:9], v[8:9], v[12:13]
	v_cmp_gt_u64_e32 vcc, v[10:11], v[0:1]
	v_add_f64 v[2:3], v[2:3], v[8:9]
	v_cndmask_b32_e32 v0, v0, v10, vcc
	v_add_u32_e32 v15, 1, v15
	v_pk_mov_b32 v[8:9], 0, 0
	s_branch .LBB1_56
.LBB1_67:
	s_or_b64 exec, exec, s[6:7]
	v_cvt_f64_u32_e32 v[4:5], v15
	v_div_scale_f64 v[6:7], s[4:5], v[4:5], v[4:5], v[2:3]
	v_rcp_f64_e32 v[8:9], v[6:7]
	v_div_scale_f64 v[10:11], vcc, v[2:3], v[4:5], v[2:3]
	v_fma_f64 v[12:13], -v[6:7], v[8:9], 1.0
	v_fmac_f64_e32 v[8:9], v[8:9], v[12:13]
	v_fma_f64 v[12:13], -v[6:7], v[8:9], 1.0
	v_fmac_f64_e32 v[8:9], v[8:9], v[12:13]
	v_mul_f64 v[12:13], v[10:11], v[8:9]
	v_fma_f64 v[6:7], -v[6:7], v[12:13], v[10:11]
	v_div_fmas_f64 v[6:7], v[6:7], v[8:9], v[12:13]
	v_div_fixup_f64 v[6:7], v[6:7], v[4:5], v[2:3]
	v_cvt_f64_u32_e32 v[2:3], v0
	s_branch .LBB1_69
.LBB1_68:
	v_mov_b32_e32 v6, 0
	v_mov_b32_e32 v7, 0x7ff80000
	v_pk_mov_b32 v[2:3], 0, 0
.LBB1_69:
	s_load_dwordx2 s[4:5], s[14:15], 0x30
	v_mov_b32_e32 v0, 0x50
	v_mov_b32_e32 v1, 0x4c
	;; [unrolled: 1-line block ×4, first 2 shown]
	s_waitcnt lgkmcnt(0)
	v_cmp_eq_f64_e32 vcc, s[4:5], v[6:7]
	v_cndmask_b32_e32 v0, v0, v1, vcc
	v_mov_b32_e32 v1, 0x48
	v_cmp_nlt_f64_e32 vcc, s[4:5], v[6:7]
	v_cndmask_b32_e32 v0, v1, v0, vcc
	v_mov_b32_e32 v1, s13
	v_add_co_u32_e32 v0, vcc, s12, v0
	v_addc_co_u32_e32 v1, vcc, 0, v1, vcc
	global_atomic_add v[0:1], v4, off
	global_load_dwordx2 v[6:7], v5, s[14:15] offset:56
	v_mov_b32_e32 v0, 0x54
	v_mov_b32_e32 v1, 0
	s_waitcnt vmcnt(0)
	v_cmp_ngt_f64_e32 vcc, v[2:3], v[6:7]
	s_and_saveexec_b64 s[4:5], vcc
; %bb.70:
	v_mov_b32_e32 v0, 0x5c
	v_mov_b32_e32 v1, 0x58
	v_cmp_eq_f64_e32 vcc, v[2:3], v[6:7]
	v_cndmask_b32_e32 v4, v0, v1, vcc
	v_pk_mov_b32 v[0:1], v[4:5], v[4:5] op_sel:[0,1]
; %bb.71:
	s_or_b64 exec, exec, s[4:5]
	s_mov_b64 s[8:9], -1
.LBB1_72:
	s_and_b64 vcc, exec, s[8:9]
	s_cbranch_vccnz .LBB1_74
; %bb.73:
	s_endpgm
.LBB1_74:
	v_mov_b32_e32 v2, s13
	v_add_co_u32_e32 v0, vcc, s12, v0
	v_addc_co_u32_e32 v1, vcc, v2, v1, vcc
	v_mov_b32_e32 v2, 1
	global_atomic_add v[0:1], v2, off
	s_endpgm
	.section	.rodata,"a",@progbits
	.p2align	6, 0x0
	.amdhsa_kernel _Z24statistical_tests_kernelPjPKdddPKhjjjj
		.amdhsa_group_segment_fixed_size 0
		.amdhsa_private_segment_fixed_size 272
		.amdhsa_kernarg_size 312
		.amdhsa_user_sgpr_count 8
		.amdhsa_user_sgpr_private_segment_buffer 1
		.amdhsa_user_sgpr_dispatch_ptr 0
		.amdhsa_user_sgpr_queue_ptr 0
		.amdhsa_user_sgpr_kernarg_segment_ptr 1
		.amdhsa_user_sgpr_dispatch_id 0
		.amdhsa_user_sgpr_flat_scratch_init 1
		.amdhsa_user_sgpr_kernarg_preload_length 0
		.amdhsa_user_sgpr_kernarg_preload_offset 0
		.amdhsa_user_sgpr_private_segment_size 0
		.amdhsa_uses_dynamic_stack 0
		.amdhsa_system_sgpr_private_segment_wavefront_offset 1
		.amdhsa_system_sgpr_workgroup_id_x 1
		.amdhsa_system_sgpr_workgroup_id_y 0
		.amdhsa_system_sgpr_workgroup_id_z 0
		.amdhsa_system_sgpr_workgroup_info 0
		.amdhsa_system_vgpr_workitem_id 0
		.amdhsa_next_free_vgpr 22
		.amdhsa_next_free_sgpr 36
		.amdhsa_accum_offset 24
		.amdhsa_reserve_vcc 1
		.amdhsa_reserve_flat_scratch 0
		.amdhsa_float_round_mode_32 0
		.amdhsa_float_round_mode_16_64 0
		.amdhsa_float_denorm_mode_32 3
		.amdhsa_float_denorm_mode_16_64 3
		.amdhsa_dx10_clamp 1
		.amdhsa_ieee_mode 1
		.amdhsa_fp16_overflow 0
		.amdhsa_tg_split 0
		.amdhsa_exception_fp_ieee_invalid_op 0
		.amdhsa_exception_fp_denorm_src 0
		.amdhsa_exception_fp_ieee_div_zero 0
		.amdhsa_exception_fp_ieee_overflow 0
		.amdhsa_exception_fp_ieee_underflow 0
		.amdhsa_exception_fp_ieee_inexact 0
		.amdhsa_exception_int_div_zero 0
	.end_amdhsa_kernel
	.text
.Lfunc_end1:
	.size	_Z24statistical_tests_kernelPjPKdddPKhjjjj, .Lfunc_end1-_Z24statistical_tests_kernelPjPKdddPKhjjjj
                                        ; -- End function
	.section	.AMDGPU.csdata,"",@progbits
; Kernel info:
; codeLenInByte = 4156
; NumSgprs: 40
; NumVgprs: 22
; NumAgprs: 0
; TotalNumVgprs: 22
; ScratchSize: 272
; MemoryBound: 0
; FloatMode: 240
; IeeeMode: 1
; LDSByteSize: 0 bytes/workgroup (compile time only)
; SGPRBlocks: 4
; VGPRBlocks: 2
; NumSGPRsForWavesPerEU: 40
; NumVGPRsForWavesPerEU: 22
; AccumOffset: 24
; Occupancy: 8
; WaveLimiterHint : 0
; COMPUTE_PGM_RSRC2:SCRATCH_EN: 1
; COMPUTE_PGM_RSRC2:USER_SGPR: 8
; COMPUTE_PGM_RSRC2:TRAP_HANDLER: 0
; COMPUTE_PGM_RSRC2:TGID_X_EN: 1
; COMPUTE_PGM_RSRC2:TGID_Y_EN: 0
; COMPUTE_PGM_RSRC2:TGID_Z_EN: 0
; COMPUTE_PGM_RSRC2:TIDIG_COMP_CNT: 0
; COMPUTE_PGM_RSRC3_GFX90A:ACCUM_OFFSET: 5
; COMPUTE_PGM_RSRC3_GFX90A:TG_SPLIT: 0
	.text
	.protected	_Z23binary_shuffling_kernelPhS_PKhjjj ; -- Begin function _Z23binary_shuffling_kernelPhS_PKhjjj
	.globl	_Z23binary_shuffling_kernelPhS_PKhjjj
	.p2align	8
	.type	_Z23binary_shuffling_kernelPhS_PKhjjj,@function
_Z23binary_shuffling_kernelPhS_PKhjjj:  ; @_Z23binary_shuffling_kernelPhS_PKhjjj
; %bb.0:
	s_load_dword s7, s[4:5], 0x34
	s_load_dwordx4 s[0:3], s[4:5], 0x18
	s_load_dwordx4 s[8:11], s[4:5], 0x0
	s_load_dwordx2 s[12:13], s[4:5], 0x10
	s_waitcnt lgkmcnt(0)
	s_and_b32 s3, s7, 0xffff
	s_mul_i32 s3, s6, s3
	s_cmp_eq_u32 s0, 0
	v_add_u32_e32 v2, s3, v0
	s_cbranch_scc1 .LBB2_4
; %bb.1:
	v_mov_b32_e32 v3, 0
	v_mov_b32_e32 v4, v2
	s_mov_b32 s4, s0
	v_mov_b32_e32 v1, 0
.LBB2_2:                                ; =>This Inner Loop Header: Depth=1
	global_load_ubyte v5, v3, s[12:13]
	s_add_i32 s4, s4, -1
	s_add_u32 s12, s12, 1
	s_addc_u32 s13, s13, 0
	s_cmp_lg_u32 s4, 0
	s_waitcnt vmcnt(0)
	global_store_byte v4, v5, s[8:9]
	v_add_u32_sdwa v1, v1, v5 dst_sel:DWORD dst_unused:UNUSED_PAD src0_sel:DWORD src1_sel:BYTE_0
	v_add_u32_e32 v4, s2, v4
	s_cbranch_scc1 .LBB2_2
; %bb.3:
	s_add_i32 s4, s0, -1
	s_cmp_eq_u32 s4, 0
	s_cbranch_scc0 .LBB2_5
	s_branch .LBB2_7
.LBB2_4:
	v_mov_b32_e32 v1, 0
	s_add_i32 s4, s0, -1
	s_cmp_eq_u32 s4, 0
	s_cbranch_scc1 .LBB2_7
.LBB2_5:
	s_mul_i32 s5, s2, s4
	s_sub_i32 s0, 1, s0
	s_add_i32 s5, s3, s5
	v_xor_b32_e32 v4, v1, v2
	v_add_u32_e32 v1, s5, v0
	v_mov_b32_e32 v3, s0
	s_mov_b32 s0, 0xe48e2825
.LBB2_6:                                ; =>This Inner Loop Header: Depth=1
	v_cvt_f32_u32_e32 v6, s4
	v_mad_u64_u32 v[4:5], s[6:7], v4, s0, 1
	v_rcp_iflag_f32_e32 v5, v6
	v_mul_f32_e32 v5, 0x4f7ffffe, v5
	v_cvt_u32_f32_e32 v5, v5
	v_mul_lo_u32 v6, v3, v5
	v_mul_hi_u32 v6, v5, v6
	v_add_u32_e32 v5, v5, v6
	v_mul_hi_u32 v5, v4, v5
	v_mul_lo_u32 v5, v5, s4
	v_sub_u32_e32 v5, v4, v5
	v_subrev_u32_e32 v6, s4, v5
	v_cmp_le_u32_e32 vcc, s4, v5
	v_cndmask_b32_e32 v5, v5, v6, vcc
	v_add_u32_e32 v6, v5, v3
	v_cmp_le_u32_e32 vcc, s4, v5
	v_cndmask_b32_e32 v5, v5, v6, vcc
	v_mad_u64_u32 v[6:7], s[6:7], v5, s2, v[2:3]
	global_load_ubyte v5, v1, s[8:9]
	global_load_ubyte v7, v6, s[8:9]
	v_add_co_u32_e32 v3, vcc, 1, v3
	s_add_i32 s4, s4, -1
	s_and_b64 vcc, exec, vcc
	s_waitcnt vmcnt(1)
	global_store_byte v6, v5, s[8:9]
	s_waitcnt vmcnt(1)
	global_store_byte v1, v7, s[8:9]
	v_subrev_u32_e32 v1, s2, v1
	s_cbranch_vccz .LBB2_6
.LBB2_7:
	s_cmp_eq_u32 s1, 0
	s_cbranch_scc1 .LBB2_10
; %bb.8:
	v_add_u32_e32 v1, s2, v0
	v_mad_u64_u32 v[2:3], s[4:5], s2, 3, v[0:1]
	v_mad_u64_u32 v[4:5], s[4:5], s2, 5, v[0:1]
	s_lshl_b32 s0, s2, 3
	v_lshl_add_u32 v10, s2, 1, v0
	v_lshl_add_u32 v3, s2, 2, v0
	v_mad_u64_u32 v[6:7], s[4:5], s2, 6, v[0:1]
	v_mad_u64_u32 v[8:9], s[4:5], s2, 7, v[0:1]
	v_mov_b32_e32 v5, v0
.LBB2_9:                                ; =>This Inner Loop Header: Depth=1
	v_add_u32_e32 v7, s3, v0
	v_add_u32_e32 v9, s3, v1
	;; [unrolled: 1-line block ×8, first 2 shown]
	global_load_ubyte v17, v7, s[8:9]
	global_load_ubyte v18, v9, s[8:9]
	;; [unrolled: 1-line block ×8, first 2 shown]
	s_add_i32 s1, s1, -1
	v_add_u32_e32 v7, s3, v5
	v_add_u32_e32 v5, s2, v5
	;; [unrolled: 1-line block ×10, first 2 shown]
	s_cmp_lg_u32 s1, 0
	s_waitcnt vmcnt(7)
	v_lshlrev_b16_e32 v9, 7, v17
	s_waitcnt vmcnt(6)
	v_lshlrev_b16_e32 v11, 6, v18
	;; [unrolled: 2-line block ×3, first 2 shown]
	v_and_b32_e32 v11, 64, v11
	s_waitcnt vmcnt(4)
	v_lshlrev_b16_e32 v13, 4, v20
	v_and_b32_e32 v12, 32, v12
	v_or_b32_e32 v9, v11, v9
	s_waitcnt vmcnt(3)
	v_lshlrev_b16_e32 v14, 3, v21
	v_and_b32_e32 v13, 16, v13
	v_or_b32_e32 v9, v9, v12
	;; [unrolled: 4-line block ×4, first 2 shown]
	v_and_b32_e32 v16, 2, v16
	v_or_b32_e32 v9, v9, v15
	s_waitcnt vmcnt(0)
	v_and_b32_e32 v17, 1, v24
	v_or_b32_e32 v9, v9, v16
	v_xor_b32_e32 v9, v9, v17
	global_store_byte v7, v9, s[10:11]
	s_cbranch_scc1 .LBB2_9
.LBB2_10:
	s_endpgm
	.section	.rodata,"a",@progbits
	.p2align	6, 0x0
	.amdhsa_kernel _Z23binary_shuffling_kernelPhS_PKhjjj
		.amdhsa_group_segment_fixed_size 0
		.amdhsa_private_segment_fixed_size 0
		.amdhsa_kernarg_size 296
		.amdhsa_user_sgpr_count 6
		.amdhsa_user_sgpr_private_segment_buffer 1
		.amdhsa_user_sgpr_dispatch_ptr 0
		.amdhsa_user_sgpr_queue_ptr 0
		.amdhsa_user_sgpr_kernarg_segment_ptr 1
		.amdhsa_user_sgpr_dispatch_id 0
		.amdhsa_user_sgpr_flat_scratch_init 0
		.amdhsa_user_sgpr_kernarg_preload_length 0
		.amdhsa_user_sgpr_kernarg_preload_offset 0
		.amdhsa_user_sgpr_private_segment_size 0
		.amdhsa_uses_dynamic_stack 0
		.amdhsa_system_sgpr_private_segment_wavefront_offset 0
		.amdhsa_system_sgpr_workgroup_id_x 1
		.amdhsa_system_sgpr_workgroup_id_y 0
		.amdhsa_system_sgpr_workgroup_id_z 0
		.amdhsa_system_sgpr_workgroup_info 0
		.amdhsa_system_vgpr_workitem_id 0
		.amdhsa_next_free_vgpr 25
		.amdhsa_next_free_sgpr 14
		.amdhsa_accum_offset 28
		.amdhsa_reserve_vcc 1
		.amdhsa_reserve_flat_scratch 0
		.amdhsa_float_round_mode_32 0
		.amdhsa_float_round_mode_16_64 0
		.amdhsa_float_denorm_mode_32 3
		.amdhsa_float_denorm_mode_16_64 3
		.amdhsa_dx10_clamp 1
		.amdhsa_ieee_mode 1
		.amdhsa_fp16_overflow 0
		.amdhsa_tg_split 0
		.amdhsa_exception_fp_ieee_invalid_op 0
		.amdhsa_exception_fp_denorm_src 0
		.amdhsa_exception_fp_ieee_div_zero 0
		.amdhsa_exception_fp_ieee_overflow 0
		.amdhsa_exception_fp_ieee_underflow 0
		.amdhsa_exception_fp_ieee_inexact 0
		.amdhsa_exception_int_div_zero 0
	.end_amdhsa_kernel
	.text
.Lfunc_end2:
	.size	_Z23binary_shuffling_kernelPhS_PKhjjj, .Lfunc_end2-_Z23binary_shuffling_kernelPhS_PKhjjj
                                        ; -- End function
	.section	.AMDGPU.csdata,"",@progbits
; Kernel info:
; codeLenInByte = 696
; NumSgprs: 18
; NumVgprs: 25
; NumAgprs: 0
; TotalNumVgprs: 25
; ScratchSize: 0
; MemoryBound: 0
; FloatMode: 240
; IeeeMode: 1
; LDSByteSize: 0 bytes/workgroup (compile time only)
; SGPRBlocks: 2
; VGPRBlocks: 3
; NumSGPRsForWavesPerEU: 18
; NumVGPRsForWavesPerEU: 25
; AccumOffset: 28
; Occupancy: 8
; WaveLimiterHint : 0
; COMPUTE_PGM_RSRC2:SCRATCH_EN: 0
; COMPUTE_PGM_RSRC2:USER_SGPR: 6
; COMPUTE_PGM_RSRC2:TRAP_HANDLER: 0
; COMPUTE_PGM_RSRC2:TGID_X_EN: 1
; COMPUTE_PGM_RSRC2:TGID_Y_EN: 0
; COMPUTE_PGM_RSRC2:TGID_Z_EN: 0
; COMPUTE_PGM_RSRC2:TIDIG_COMP_CNT: 0
; COMPUTE_PGM_RSRC3_GFX90A:ACCUM_OFFSET: 6
; COMPUTE_PGM_RSRC3_GFX90A:TG_SPLIT: 0
	.text
	.protected	_Z31binary_statistical_tests_kernelPjPKdddPKhS3_jjjjj ; -- Begin function _Z31binary_statistical_tests_kernelPjPKdddPKhS3_jjjjj
	.globl	_Z31binary_statistical_tests_kernelPjPKdddPKhS3_jjjjj
	.p2align	8
	.type	_Z31binary_statistical_tests_kernelPjPKdddPKhS3_jjjjj,@function
_Z31binary_statistical_tests_kernelPjPKdddPKhS3_jjjjj: ; @_Z31binary_statistical_tests_kernelPjPKdddPKhS3_jjjjj
; %bb.0:
	s_load_dwordx4 s[20:23], s[4:5], 0x34
	s_load_dwordx4 s[24:27], s[4:5], 0x20
	s_add_u32 s0, s0, s9
	s_addc_u32 s1, s1, 0
	s_load_dwordx8 s[12:19], s[4:5], 0x0
	s_load_dword s6, s[4:5], 0x54
	s_waitcnt lgkmcnt(0)
	v_cvt_f32_u32_e32 v1, s23
	s_sub_i32 s4, 0, s23
	v_rcp_iflag_f32_e32 v1, v1
	v_mul_f32_e32 v1, 0x4f7ffffe, v1
	v_cvt_u32_f32_e32 v1, v1
	v_readfirstlane_b32 s5, v1
	s_mul_i32 s4, s4, s5
	s_mul_hi_u32 s4, s5, s4
	s_add_i32 s5, s5, s4
	s_mul_hi_u32 s4, s8, s5
	s_mul_i32 s5, s4, s23
	s_sub_i32 s5, s8, s5
	s_add_i32 s7, s4, 1
	s_sub_i32 s9, s5, s23
	s_cmp_ge_u32 s5, s23
	s_cselect_b32 s4, s7, s4
	s_cselect_b32 s5, s9, s5
	s_add_i32 s7, s4, 1
	s_cmp_ge_u32 s5, s23
	s_cselect_b32 s38, s7, s4
	s_mul_i32 s5, s38, s23
	s_and_b32 s4, s6, 0xffff
	s_sub_i32 s33, s8, s5
	s_mul_i32 s33, s33, s4
	s_cmp_ge_u32 s8, s23
	v_add_u32_e32 v2, s33, v0
	s_cbranch_scc0 .LBB3_28
; %bb.1:
	s_cmp_lt_i32 s38, 2
	s_cbranch_scc1 .LBB3_29
; %bb.2:
	s_cmp_gt_i32 s38, 2
	s_cbranch_scc0 .LBB3_30
; %bb.3:
	s_cmp_eq_u32 s38, 3
	s_mov_b64 s[4:5], 0
	s_cbranch_scc0 .LBB3_43
; %bb.4:
	v_pk_mov_b32 v[4:5], 0, 0
	s_cmp_eq_u32 s21, 1
	v_pk_mov_b32 v[6:7], v[4:5], v[4:5] op_sel:[0,1]
	s_cbranch_scc1 .LBB3_7
; %bb.5:
	global_load_ubyte v3, v2, s[26:27]
	v_pk_mov_b32 v[4:5], 0, 0
	s_add_i32 s6, s21, -1
	s_mov_b32 s7, 0xffff
	v_mov_b32_e32 v1, v2
	v_pk_mov_b32 v[6:7], v[4:5], v[4:5] op_sel:[0,1]
.LBB3_6:                                ; =>This Inner Loop Header: Depth=1
	v_add_u32_e32 v1, s22, v1
	s_waitcnt vmcnt(0)
	v_lshrrev_b16_e32 v10, 7, v3
	v_lshrrev_b16_e32 v11, 6, v3
	;; [unrolled: 1-line block ×7, first 2 shown]
	v_and_b32_e32 v17, 1, v3
	global_load_ubyte v3, v1, s[26:27]
	v_and_b32_e32 v10, 1, v10
	v_and_b32_e32 v11, 1, v11
	v_add_u16_e32 v10, v17, v10
	v_and_b32_e32 v12, 1, v12
	v_add_u16_e32 v10, v10, v11
	;; [unrolled: 2-line block ×6, first 2 shown]
	v_add_u16_e32 v10, v10, v16
	v_add_f64 v[8:9], v[6:7], 1.0
	s_add_i32 s6, s6, -1
	s_cmp_lg_u32 s6, 0
	s_waitcnt vmcnt(0)
	v_lshrrev_b16_e32 v11, 7, v3
	v_lshrrev_b16_e32 v12, 6, v3
	v_and_b32_e32 v18, 1, v3
	v_lshrrev_b16_e32 v13, 5, v3
	v_and_b32_e32 v12, 1, v12
	v_add_u16_e32 v11, v18, v11
	v_lshrrev_b16_e32 v14, 4, v3
	v_and_b32_e32 v13, 1, v13
	v_add_u16_e32 v11, v11, v12
	;; [unrolled: 3-line block ×5, first 2 shown]
	v_and_b32_e32 v17, 1, v17
	v_add_u16_e32 v11, v11, v16
	v_add_u16_e32 v11, v11, v17
	v_cmp_eq_u16_sdwa vcc, v10, v11 src0_sel:BYTE_0 src1_sel:BYTE_0
	v_cndmask_b32_e32 v7, v7, v9, vcc
	v_mul_lo_u16_e32 v9, v11, v10
	v_cndmask_b32_e32 v6, v6, v8, vcc
	v_and_b32_sdwa v8, s7, v9 dst_sel:DWORD dst_unused:UNUSED_PAD src0_sel:DWORD src1_sel:BYTE_0
	v_cvt_f64_u32_e32 v[8:9], v8
	v_add_f64 v[4:5], v[4:5], v[8:9]
	s_cbranch_scc1 .LBB3_6
.LBB3_7:
	s_load_dwordx2 s[6:7], s[14:15], 0x40
	v_mov_b32_e32 v3, 0x68
	v_mov_b32_e32 v8, 0x64
	;; [unrolled: 1-line block ×4, first 2 shown]
	s_waitcnt lgkmcnt(0)
	v_cmp_eq_f64_e32 vcc, s[6:7], v[6:7]
	v_cndmask_b32_e32 v3, v3, v8, vcc
	v_mov_b32_e32 v8, 0x60
	v_cmp_nlt_f64_e32 vcc, s[6:7], v[6:7]
	v_cndmask_b32_e32 v3, v8, v3, vcc
	v_mov_b32_e32 v7, s13
	v_add_co_u32_e32 v6, vcc, s12, v3
	v_addc_co_u32_e32 v7, vcc, 0, v7, vcc
	v_mov_b32_e32 v3, 1
	global_atomic_add v[6:7], v3, off
	global_load_dwordx2 v[6:7], v1, s[14:15] offset:104
	v_mov_b32_e32 v1, 0xa4
	v_mov_b32_e32 v8, 0xa0
	;; [unrolled: 1-line block ×3, first 2 shown]
	s_cmp_eq_u32 s21, 2
	s_waitcnt vmcnt(0)
	v_cmp_eq_f64_e32 vcc, v[4:5], v[6:7]
	v_cndmask_b32_e32 v1, v1, v8, vcc
	v_cmp_ngt_f64_e32 vcc, v[4:5], v[6:7]
	v_cndmask_b32_e32 v1, v9, v1, vcc
	v_add_co_u32_e32 v4, vcc, s12, v1
	v_addc_co_u32_e32 v5, vcc, 0, v10, vcc
	global_atomic_add v[4:5], v3, off
	v_pk_mov_b32 v[4:5], 0, 0
	v_pk_mov_b32 v[6:7], v[4:5], v[4:5] op_sel:[0,1]
	s_cbranch_scc1 .LBB3_10
; %bb.8:
	v_pk_mov_b32 v[4:5], 0, 0
	s_lshl_b32 s6, s22, 1
	s_add_i32 s7, s21, -2
	s_mov_b32 s8, 0xffff
	v_mov_b32_e32 v1, v2
	v_pk_mov_b32 v[6:7], v[4:5], v[4:5] op_sel:[0,1]
.LBB3_9:                                ; =>This Inner Loop Header: Depth=1
	global_load_ubyte v3, v1, s[26:27]
	v_add_u32_e32 v8, s6, v1
	global_load_ubyte v10, v8, s[26:27]
	v_add_f64 v[8:9], v[6:7], 1.0
	s_add_i32 s7, s7, -1
	v_add_u32_e32 v1, s22, v1
	s_cmp_lg_u32 s7, 0
	s_waitcnt vmcnt(1)
	v_lshrrev_b16_e32 v11, 7, v3
	v_lshrrev_b16_e32 v12, 6, v3
	;; [unrolled: 1-line block ×7, first 2 shown]
	v_and_b32_e32 v3, 1, v3
	v_and_b32_e32 v12, 1, v12
	v_add_u16_e32 v3, v3, v11
	s_waitcnt vmcnt(0)
	v_lshrrev_b16_e32 v11, 7, v10
	v_lshrrev_b16_e32 v18, 6, v10
	;; [unrolled: 1-line block ×7, first 2 shown]
	v_and_b32_e32 v10, 1, v10
	v_add_u16_e32 v3, v3, v12
	v_and_b32_e32 v12, 1, v18
	v_add_u16_e32 v10, v10, v11
	v_and_b32_e32 v13, 1, v13
	v_and_b32_e32 v18, 1, v19
	v_add_u16_e32 v10, v10, v12
	v_and_b32_e32 v14, 1, v14
	v_and_b32_e32 v19, 1, v20
	v_add_u16_e32 v3, v3, v13
	v_add_u16_e32 v10, v10, v18
	v_and_b32_e32 v15, 1, v15
	v_and_b32_e32 v20, 1, v21
	v_add_u16_e32 v3, v3, v14
	;; [unrolled: 4-line block ×4, first 2 shown]
	v_add_u16_e32 v10, v10, v21
	v_add_u16_e32 v3, v3, v17
	;; [unrolled: 1-line block ×3, first 2 shown]
	v_cmp_eq_u16_sdwa vcc, v3, v10 src0_sel:BYTE_0 src1_sel:BYTE_0
	v_mul_lo_u16_e32 v3, v10, v3
	v_and_b32_sdwa v3, s8, v3 dst_sel:DWORD dst_unused:UNUSED_PAD src0_sel:DWORD src1_sel:BYTE_0
	v_cndmask_b32_e32 v7, v7, v9, vcc
	v_cndmask_b32_e32 v6, v6, v8, vcc
	v_cvt_f64_u32_e32 v[8:9], v3
	v_add_f64 v[4:5], v[4:5], v[8:9]
	s_cbranch_scc1 .LBB3_9
.LBB3_10:
	v_mov_b32_e32 v1, 0
	global_load_dwordx2 v[8:9], v1, s[14:15] offset:72
	v_mov_b32_e32 v3, 0x74
	v_mov_b32_e32 v10, 0x70
	;; [unrolled: 1-line block ×5, first 2 shown]
	s_cmp_eq_u32 s21, 8
	s_waitcnt vmcnt(0)
	v_cmp_eq_f64_e32 vcc, v[6:7], v[8:9]
	v_cndmask_b32_e32 v3, v3, v10, vcc
	v_cmp_ngt_f64_e32 vcc, v[6:7], v[8:9]
	v_cndmask_b32_e32 v3, v11, v3, vcc
	v_add_co_u32_e32 v6, vcc, s12, v3
	v_addc_co_u32_e32 v7, vcc, 0, v12, vcc
	global_atomic_add v[6:7], v13, off
	global_load_dwordx2 v[6:7], v1, s[14:15] offset:112
	v_mov_b32_e32 v1, 0xb0
	v_mov_b32_e32 v3, 0xac
	;; [unrolled: 1-line block ×4, first 2 shown]
	s_waitcnt vmcnt(0)
	v_cmp_eq_f64_e32 vcc, v[4:5], v[6:7]
	v_cndmask_b32_e32 v1, v1, v3, vcc
	v_cmp_ngt_f64_e32 vcc, v[4:5], v[6:7]
	v_cndmask_b32_e32 v1, v8, v1, vcc
	v_add_co_u32_e32 v4, vcc, s12, v1
	v_addc_co_u32_e32 v5, vcc, 0, v9, vcc
	global_atomic_add v[4:5], v13, off
	v_pk_mov_b32 v[4:5], 0, 0
	v_pk_mov_b32 v[6:7], v[4:5], v[4:5] op_sel:[0,1]
	s_cbranch_scc1 .LBB3_13
; %bb.11:
	v_pk_mov_b32 v[4:5], 0, 0
	s_lshl_b32 s6, s22, 3
	s_add_i32 s7, s21, -8
	s_mov_b32 s8, 0xffff
	v_mov_b32_e32 v1, v2
	v_pk_mov_b32 v[6:7], v[4:5], v[4:5] op_sel:[0,1]
.LBB3_12:                               ; =>This Inner Loop Header: Depth=1
	global_load_ubyte v3, v1, s[26:27]
	v_add_u32_e32 v8, s6, v1
	global_load_ubyte v10, v8, s[26:27]
	v_add_f64 v[8:9], v[6:7], 1.0
	s_add_i32 s7, s7, -1
	v_add_u32_e32 v1, s22, v1
	s_cmp_lg_u32 s7, 0
	s_waitcnt vmcnt(1)
	v_lshrrev_b16_e32 v11, 7, v3
	v_lshrrev_b16_e32 v12, 6, v3
	;; [unrolled: 1-line block ×7, first 2 shown]
	v_and_b32_e32 v3, 1, v3
	v_and_b32_e32 v12, 1, v12
	v_add_u16_e32 v3, v3, v11
	s_waitcnt vmcnt(0)
	v_lshrrev_b16_e32 v11, 7, v10
	v_lshrrev_b16_e32 v18, 6, v10
	;; [unrolled: 1-line block ×7, first 2 shown]
	v_and_b32_e32 v10, 1, v10
	v_add_u16_e32 v3, v3, v12
	v_and_b32_e32 v12, 1, v18
	v_add_u16_e32 v10, v10, v11
	v_and_b32_e32 v13, 1, v13
	v_and_b32_e32 v18, 1, v19
	v_add_u16_e32 v10, v10, v12
	v_and_b32_e32 v14, 1, v14
	v_and_b32_e32 v19, 1, v20
	v_add_u16_e32 v3, v3, v13
	v_add_u16_e32 v10, v10, v18
	v_and_b32_e32 v15, 1, v15
	v_and_b32_e32 v20, 1, v21
	v_add_u16_e32 v3, v3, v14
	;; [unrolled: 4-line block ×4, first 2 shown]
	v_add_u16_e32 v10, v10, v21
	v_add_u16_e32 v3, v3, v17
	;; [unrolled: 1-line block ×3, first 2 shown]
	v_cmp_eq_u16_sdwa vcc, v3, v10 src0_sel:BYTE_0 src1_sel:BYTE_0
	v_mul_lo_u16_e32 v3, v10, v3
	v_and_b32_sdwa v3, s8, v3 dst_sel:DWORD dst_unused:UNUSED_PAD src0_sel:DWORD src1_sel:BYTE_0
	v_cndmask_b32_e32 v7, v7, v9, vcc
	v_cndmask_b32_e32 v6, v6, v8, vcc
	v_cvt_f64_u32_e32 v[8:9], v3
	v_add_f64 v[4:5], v[4:5], v[8:9]
	s_cbranch_scc1 .LBB3_12
.LBB3_13:
	v_mov_b32_e32 v1, 0
	global_load_dwordx2 v[8:9], v1, s[14:15] offset:80
	v_mov_b32_e32 v3, 0x80
	v_mov_b32_e32 v10, 0x7c
	;; [unrolled: 1-line block ×5, first 2 shown]
	s_cmp_eq_u32 s21, 16
	s_waitcnt vmcnt(0)
	v_cmp_eq_f64_e32 vcc, v[6:7], v[8:9]
	v_cndmask_b32_e32 v3, v3, v10, vcc
	v_cmp_ngt_f64_e32 vcc, v[6:7], v[8:9]
	v_cndmask_b32_e32 v3, v11, v3, vcc
	v_add_co_u32_e32 v6, vcc, s12, v3
	v_addc_co_u32_e32 v7, vcc, 0, v12, vcc
	global_atomic_add v[6:7], v13, off
	global_load_dwordx2 v[6:7], v1, s[14:15] offset:120
	v_mov_b32_e32 v1, 0xbc
	v_mov_b32_e32 v3, 0xb8
	;; [unrolled: 1-line block ×4, first 2 shown]
	s_waitcnt vmcnt(0)
	v_cmp_eq_f64_e32 vcc, v[4:5], v[6:7]
	v_cndmask_b32_e32 v1, v1, v3, vcc
	v_cmp_ngt_f64_e32 vcc, v[4:5], v[6:7]
	v_cndmask_b32_e32 v1, v8, v1, vcc
	v_add_co_u32_e32 v4, vcc, s12, v1
	v_addc_co_u32_e32 v5, vcc, 0, v9, vcc
	global_atomic_add v[4:5], v13, off
	v_pk_mov_b32 v[4:5], 0, 0
	v_pk_mov_b32 v[6:7], v[4:5], v[4:5] op_sel:[0,1]
	s_cbranch_scc1 .LBB3_16
; %bb.14:
	v_pk_mov_b32 v[4:5], 0, 0
	s_lshl_b32 s6, s22, 4
	s_add_i32 s7, s21, -16
	s_mov_b32 s8, 0xffff
	v_mov_b32_e32 v1, v2
	v_pk_mov_b32 v[6:7], v[4:5], v[4:5] op_sel:[0,1]
.LBB3_15:                               ; =>This Inner Loop Header: Depth=1
	global_load_ubyte v3, v1, s[26:27]
	v_add_u32_e32 v8, s6, v1
	global_load_ubyte v10, v8, s[26:27]
	v_add_f64 v[8:9], v[6:7], 1.0
	s_add_i32 s7, s7, -1
	v_add_u32_e32 v1, s22, v1
	s_cmp_lg_u32 s7, 0
	s_waitcnt vmcnt(1)
	v_lshrrev_b16_e32 v11, 7, v3
	v_lshrrev_b16_e32 v12, 6, v3
	;; [unrolled: 1-line block ×7, first 2 shown]
	v_and_b32_e32 v3, 1, v3
	v_and_b32_e32 v12, 1, v12
	v_add_u16_e32 v3, v3, v11
	s_waitcnt vmcnt(0)
	v_lshrrev_b16_e32 v11, 7, v10
	v_lshrrev_b16_e32 v18, 6, v10
	;; [unrolled: 1-line block ×7, first 2 shown]
	v_and_b32_e32 v10, 1, v10
	v_add_u16_e32 v3, v3, v12
	v_and_b32_e32 v12, 1, v18
	v_add_u16_e32 v10, v10, v11
	v_and_b32_e32 v13, 1, v13
	v_and_b32_e32 v18, 1, v19
	v_add_u16_e32 v10, v10, v12
	v_and_b32_e32 v14, 1, v14
	v_and_b32_e32 v19, 1, v20
	v_add_u16_e32 v3, v3, v13
	v_add_u16_e32 v10, v10, v18
	v_and_b32_e32 v15, 1, v15
	v_and_b32_e32 v20, 1, v21
	v_add_u16_e32 v3, v3, v14
	;; [unrolled: 4-line block ×4, first 2 shown]
	v_add_u16_e32 v10, v10, v21
	v_add_u16_e32 v3, v3, v17
	;; [unrolled: 1-line block ×3, first 2 shown]
	v_cmp_eq_u16_sdwa vcc, v3, v10 src0_sel:BYTE_0 src1_sel:BYTE_0
	v_mul_lo_u16_e32 v3, v10, v3
	v_and_b32_sdwa v3, s8, v3 dst_sel:DWORD dst_unused:UNUSED_PAD src0_sel:DWORD src1_sel:BYTE_0
	v_cndmask_b32_e32 v7, v7, v9, vcc
	v_cndmask_b32_e32 v6, v6, v8, vcc
	v_cvt_f64_u32_e32 v[8:9], v3
	v_add_f64 v[4:5], v[4:5], v[8:9]
	s_cbranch_scc1 .LBB3_15
.LBB3_16:
	v_mov_b32_e32 v1, 0
	global_load_dwordx2 v[8:9], v1, s[14:15] offset:88
	v_mov_b32_e32 v3, 0x8c
	v_mov_b32_e32 v10, 0x88
	;; [unrolled: 1-line block ×5, first 2 shown]
	s_cmp_eq_u32 s21, 32
	s_waitcnt vmcnt(0)
	v_cmp_eq_f64_e32 vcc, v[6:7], v[8:9]
	v_cndmask_b32_e32 v3, v3, v10, vcc
	v_cmp_ngt_f64_e32 vcc, v[6:7], v[8:9]
	v_cndmask_b32_e32 v3, v11, v3, vcc
	v_add_co_u32_e32 v6, vcc, s12, v3
	v_addc_co_u32_e32 v7, vcc, 0, v12, vcc
	global_atomic_add v[6:7], v13, off
	global_load_dwordx2 v[6:7], v1, s[14:15] offset:128
	v_mov_b32_e32 v1, 0xc8
	v_mov_b32_e32 v3, 0xc4
	;; [unrolled: 1-line block ×4, first 2 shown]
	s_waitcnt vmcnt(0)
	v_cmp_eq_f64_e32 vcc, v[4:5], v[6:7]
	v_cndmask_b32_e32 v1, v1, v3, vcc
	v_cmp_ngt_f64_e32 vcc, v[4:5], v[6:7]
	v_cndmask_b32_e32 v1, v8, v1, vcc
	v_add_co_u32_e32 v4, vcc, s12, v1
	v_addc_co_u32_e32 v5, vcc, 0, v9, vcc
	global_atomic_add v[4:5], v13, off
	v_pk_mov_b32 v[6:7], 0, 0
	v_pk_mov_b32 v[4:5], v[6:7], v[6:7] op_sel:[0,1]
	s_cbranch_scc1 .LBB3_19
; %bb.17:
	v_pk_mov_b32 v[6:7], 0, 0
	s_lshl_b32 s6, s22, 5
	s_sub_i32 s7, s21, 32
	s_mov_b32 s8, 0xffff
	v_mov_b32_e32 v1, v2
	v_pk_mov_b32 v[4:5], v[6:7], v[6:7] op_sel:[0,1]
.LBB3_18:                               ; =>This Inner Loop Header: Depth=1
	global_load_ubyte v3, v1, s[26:27]
	v_add_u32_e32 v8, s6, v1
	global_load_ubyte v10, v8, s[26:27]
	v_add_f64 v[8:9], v[4:5], 1.0
	s_add_i32 s7, s7, -1
	v_add_u32_e32 v1, s22, v1
	s_cmp_lg_u32 s7, 0
	s_waitcnt vmcnt(1)
	v_lshrrev_b16_e32 v11, 7, v3
	v_lshrrev_b16_e32 v12, 6, v3
	;; [unrolled: 1-line block ×7, first 2 shown]
	v_and_b32_e32 v3, 1, v3
	v_and_b32_e32 v12, 1, v12
	v_add_u16_e32 v3, v3, v11
	s_waitcnt vmcnt(0)
	v_lshrrev_b16_e32 v11, 7, v10
	v_lshrrev_b16_e32 v18, 6, v10
	v_lshrrev_b16_e32 v19, 5, v10
	v_lshrrev_b16_e32 v20, 4, v10
	v_lshrrev_b16_e32 v21, 3, v10
	v_lshrrev_b16_e32 v22, 2, v10
	v_lshrrev_b16_e32 v23, 1, v10
	v_and_b32_e32 v10, 1, v10
	v_add_u16_e32 v3, v3, v12
	v_and_b32_e32 v12, 1, v18
	v_add_u16_e32 v10, v10, v11
	v_and_b32_e32 v13, 1, v13
	v_and_b32_e32 v18, 1, v19
	v_add_u16_e32 v10, v10, v12
	v_and_b32_e32 v14, 1, v14
	v_and_b32_e32 v19, 1, v20
	v_add_u16_e32 v3, v3, v13
	v_add_u16_e32 v10, v10, v18
	v_and_b32_e32 v15, 1, v15
	v_and_b32_e32 v20, 1, v21
	v_add_u16_e32 v3, v3, v14
	;; [unrolled: 4-line block ×4, first 2 shown]
	v_add_u16_e32 v10, v10, v21
	v_add_u16_e32 v3, v3, v17
	;; [unrolled: 1-line block ×3, first 2 shown]
	v_cmp_eq_u16_sdwa vcc, v3, v10 src0_sel:BYTE_0 src1_sel:BYTE_0
	v_mul_lo_u16_e32 v3, v10, v3
	v_and_b32_sdwa v3, s8, v3 dst_sel:DWORD dst_unused:UNUSED_PAD src0_sel:DWORD src1_sel:BYTE_0
	v_cndmask_b32_e32 v5, v5, v9, vcc
	v_cndmask_b32_e32 v4, v4, v8, vcc
	v_cvt_f64_u32_e32 v[8:9], v3
	v_add_f64 v[6:7], v[6:7], v[8:9]
	s_cbranch_scc1 .LBB3_18
.LBB3_19:
	v_mov_b32_e32 v1, 0
	global_load_dwordx2 v[8:9], v1, s[14:15] offset:96
	v_mov_b32_e32 v3, 0x98
	v_mov_b32_e32 v10, 0x94
	;; [unrolled: 1-line block ×4, first 2 shown]
	s_waitcnt vmcnt(0)
	v_cmp_eq_f64_e32 vcc, v[4:5], v[8:9]
	v_cndmask_b32_e32 v3, v3, v10, vcc
	v_cmp_ngt_f64_e32 vcc, v[4:5], v[8:9]
	v_cndmask_b32_e32 v3, v11, v3, vcc
	v_add_co_u32_e32 v4, vcc, s12, v3
	v_addc_co_u32_e32 v5, vcc, 0, v12, vcc
	v_mov_b32_e32 v3, 1
	global_atomic_add v[4:5], v3, off
	global_load_dwordx2 v[8:9], v1, s[14:15] offset:136
                                        ; implicit-def: $vgpr4_vgpr5
	s_waitcnt vmcnt(0)
	v_cmp_ngt_f64_e32 vcc, v[6:7], v[8:9]
	s_and_saveexec_b64 s[6:7], vcc
	s_xor_b64 s[6:7], exec, s[6:7]
	s_cbranch_execz .LBB3_25
; %bb.20:
	v_cmp_neq_f64_e32 vcc, v[6:7], v[8:9]
                                        ; implicit-def: $sgpr8_sgpr9
	s_and_saveexec_b64 s[10:11], vcc
	s_xor_b64 s[10:11], exec, s[10:11]
; %bb.21:
	s_add_u32 s8, s12, 0xd4
	s_addc_u32 s9, s13, 0
; %bb.22:
	s_or_saveexec_b64 s[10:11], s[10:11]
	v_pk_mov_b32 v[4:5], s[8:9], s[8:9] op_sel:[0,1]
	s_xor_b64 exec, exec, s[10:11]
; %bb.23:
	s_add_u32 s8, s12, 0xd0
	s_addc_u32 s9, s13, 0
	v_pk_mov_b32 v[4:5], s[8:9], s[8:9] op_sel:[0,1]
; %bb.24:
	s_or_b64 exec, exec, s[10:11]
.LBB3_25:
	s_andn2_saveexec_b64 s[6:7], s[6:7]
; %bb.26:
	s_add_u32 s8, s12, 0xcc
	s_addc_u32 s9, s13, 0
	v_pk_mov_b32 v[4:5], s[8:9], s[8:9] op_sel:[0,1]
; %bb.27:
	s_or_b64 exec, exec, s[6:7]
	s_mov_b64 s[6:7], -1
	s_and_b64 vcc, exec, s[4:5]
	s_cbranch_vccnz .LBB3_31
	s_branch .LBB3_44
.LBB3_28:
	s_mov_b64 s[6:7], 0
                                        ; implicit-def: $vgpr4_vgpr5
	s_cbranch_execnz .LBB3_78
	s_branch .LBB3_90
.LBB3_29:
	s_mov_b64 s[6:7], 0
                                        ; implicit-def: $vgpr4_vgpr5
	s_cbranch_execnz .LBB3_55
	s_branch .LBB3_59
.LBB3_30:
	s_mov_b64 s[6:7], 0
                                        ; implicit-def: $vgpr4_vgpr5
	s_cbranch_execz .LBB3_44
.LBB3_31:
	v_mov_b32_e32 v5, 0
	s_cmp_eq_u32 s21, 0
	s_mov_b32 s5, 0
	buffer_store_dword v5, off, s[0:3], 0 offset:252
	buffer_store_dword v5, off, s[0:3], 0 offset:248
	;; [unrolled: 1-line block ×44, first 2 shown]
	s_cbranch_scc1 .LBB3_45
; %bb.32:
	v_mov_b32_e32 v1, s27
	v_add_co_u32_e32 v8, vcc, s26, v2
	v_pk_mov_b32 v[12:13], 0, 0
	s_mov_b32 s4, s21
	s_mov_b32 s23, s5
	v_addc_co_u32_e32 v9, vcc, 0, v1, vcc
	s_mov_b64 s[6:7], 0
	v_pk_mov_b32 v[6:7], 0, 0
	v_mov_b32_e32 v1, 1
	v_mov_b32_e32 v4, v5
	;; [unrolled: 1-line block ×3, first 2 shown]
	v_pk_mov_b32 v[10:11], v[12:13], v[12:13] op_sel:[0,1]
	s_branch .LBB3_35
.LBB3_33:                               ;   in Loop: Header=BB3_35 Depth=1
	s_or_b64 exec, exec, s[10:11]
.LBB3_34:                               ;   in Loop: Header=BB3_35 Depth=1
	s_or_b64 exec, exec, s[8:9]
	v_add_co_u32_e32 v10, vcc, 1, v10
	v_addc_co_u32_e32 v11, vcc, 0, v11, vcc
	v_add_co_u32_e32 v14, vcc, v12, v10
	v_addc_co_u32_e32 v15, vcc, v13, v11, vcc
	v_cmp_le_u64_e32 vcc, s[4:5], v[14:15]
	s_or_b64 s[6:7], vcc, s[6:7]
	s_andn2_b64 exec, exec, s[6:7]
	s_cbranch_execz .LBB3_42
.LBB3_35:                               ; =>This Loop Header: Depth=1
                                        ;     Child Loop BB3_38 Depth 2
	v_add_co_u32_e32 v14, vcc, v10, v12
	v_addc_co_u32_e32 v15, vcc, v11, v13, vcc
	v_cmp_gt_u64_e32 vcc, s[4:5], v[14:15]
	buffer_store_dword v5, off, s[0:3], 0
	buffer_store_dword v5, off, s[0:3], 0 offset:4
	buffer_store_dword v5, off, s[0:3], 0 offset:8
	;; [unrolled: 1-line block ×63, first 2 shown]
	s_and_saveexec_b64 s[8:9], vcc
	s_cbranch_execz .LBB3_34
; %bb.36:                               ;   in Loop: Header=BB3_35 Depth=1
	v_mad_u64_u32 v[16:17], s[10:11], s22, v14, v[8:9]
	v_mov_b32_e32 v14, v17
	v_mad_u64_u32 v[14:15], s[10:11], s22, v15, v[14:15]
	v_mov_b32_e32 v17, v14
	s_mov_b64 s[28:29], 0
                                        ; implicit-def: $sgpr10_sgpr11
                                        ; implicit-def: $sgpr34_sgpr35
                                        ; implicit-def: $sgpr30_sgpr31
	s_branch .LBB3_38
.LBB3_37:                               ;   in Loop: Header=BB3_38 Depth=2
	s_or_b64 exec, exec, s[36:37]
	s_and_b64 s[36:37], exec, s[34:35]
	s_or_b64 s[28:29], s[36:37], s[28:29]
	s_andn2_b64 s[10:11], s[10:11], exec
	s_and_b64 s[36:37], s[30:31], exec
	s_or_b64 s[10:11], s[10:11], s[36:37]
	s_andn2_b64 exec, exec, s[28:29]
	s_cbranch_execz .LBB3_40
.LBB3_38:                               ;   Parent Loop BB3_35 Depth=1
                                        ; =>  This Inner Loop Header: Depth=2
	global_load_ubyte v14, v[16:17], off
	s_or_b64 s[30:31], s[30:31], exec
	s_or_b64 s[34:35], s[34:35], exec
	s_waitcnt vmcnt(0)
	v_add_u32_e32 v18, 0, v14
	buffer_load_ubyte v19, v18, s[0:3], 0 offen
	v_pk_mov_b32 v[14:15], v[12:13], v[12:13] op_sel:[0,1]
	s_waitcnt vmcnt(0)
	v_and_b32_e32 v12, 1, v19
	v_cmp_eq_u32_e32 vcc, 1, v12
	s_xor_b64 s[40:41], vcc, -1
                                        ; implicit-def: $vgpr12_vgpr13
	s_and_saveexec_b64 s[36:37], s[40:41]
	s_cbranch_execz .LBB3_37
; %bb.39:                               ;   in Loop: Header=BB3_38 Depth=2
	v_add_co_u32_e32 v12, vcc, 1, v14
	v_addc_co_u32_e32 v13, vcc, 0, v15, vcc
	buffer_store_byte v1, v18, s[0:3], 0 offen
	v_add_co_u32_e32 v18, vcc, v10, v12
	v_addc_co_u32_e32 v19, vcc, v11, v13, vcc
	v_mov_b32_e32 v20, s23
	v_add_co_u32_e32 v16, vcc, s22, v16
	v_addc_co_u32_e32 v17, vcc, v17, v20, vcc
	v_cmp_le_u64_e32 vcc, s[4:5], v[18:19]
	s_andn2_b64 s[34:35], s[34:35], exec
	s_and_b64 s[40:41], vcc, exec
	s_andn2_b64 s[30:31], s[30:31], exec
	s_or_b64 s[34:35], s[34:35], s[40:41]
	s_branch .LBB3_37
.LBB3_40:                               ;   in Loop: Header=BB3_35 Depth=1
	s_or_b64 exec, exec, s[28:29]
	s_and_saveexec_b64 s[28:29], s[10:11]
	s_xor_b64 s[10:11], exec, s[28:29]
	s_cbranch_execz .LBB3_33
; %bb.41:                               ;   in Loop: Header=BB3_35 Depth=1
	v_add_co_u32_e32 v10, vcc, v10, v14
	v_cvt_f64_u32_e32 v[12:13], v15
	v_addc_co_u32_e32 v11, vcc, v11, v15, vcc
	v_ldexp_f64 v[12:13], v[12:13], 32
	v_cvt_f64_u32_e32 v[16:17], v14
	v_add_f64 v[12:13], v[12:13], v[16:17]
	v_cmp_gt_u64_e32 vcc, v[14:15], v[4:5]
	v_add_f64 v[6:7], v[6:7], v[12:13]
	v_cndmask_b32_e32 v4, v4, v14, vcc
	v_add_u32_e32 v3, 1, v3
	v_pk_mov_b32 v[12:13], 0, 0
	s_branch .LBB3_33
.LBB3_42:
	s_or_b64 exec, exec, s[6:7]
	v_cvt_f64_u32_e32 v[8:9], v3
	v_div_scale_f64 v[10:11], s[4:5], v[8:9], v[8:9], v[6:7]
	v_rcp_f64_e32 v[12:13], v[10:11]
	v_div_scale_f64 v[14:15], vcc, v[6:7], v[8:9], v[6:7]
	v_fma_f64 v[16:17], -v[10:11], v[12:13], 1.0
	v_fmac_f64_e32 v[12:13], v[12:13], v[16:17]
	v_fma_f64 v[16:17], -v[10:11], v[12:13], 1.0
	v_fmac_f64_e32 v[12:13], v[12:13], v[16:17]
	v_mul_f64 v[16:17], v[14:15], v[12:13]
	v_fma_f64 v[10:11], -v[10:11], v[16:17], v[14:15]
	v_div_fmas_f64 v[10:11], v[10:11], v[12:13], v[16:17]
	v_div_fixup_f64 v[8:9], v[10:11], v[8:9], v[6:7]
	v_cvt_f64_u32_e32 v[6:7], v4
	s_branch .LBB3_46
.LBB3_43:
                                        ; implicit-def: $vgpr4_vgpr5
	s_mov_b64 s[6:7], 0
	s_and_b64 vcc, exec, s[4:5]
	s_cbranch_vccnz .LBB3_31
.LBB3_44:
	s_branch .LBB3_59
.LBB3_45:
	v_mov_b32_e32 v8, 0
	v_mov_b32_e32 v9, 0x7ff80000
	v_pk_mov_b32 v[6:7], 0, 0
.LBB3_46:
	s_load_dwordx2 s[4:5], s[14:15], 0x30
	v_mov_b32_e32 v3, 0x50
	v_mov_b32_e32 v4, 0x4c
	;; [unrolled: 1-line block ×4, first 2 shown]
	s_waitcnt lgkmcnt(0)
	v_cmp_eq_f64_e32 vcc, s[4:5], v[8:9]
	v_cndmask_b32_e32 v3, v3, v4, vcc
	v_mov_b32_e32 v4, 0x48
	v_cmp_nlt_f64_e32 vcc, s[4:5], v[8:9]
	v_cndmask_b32_e32 v3, v4, v3, vcc
	v_add_co_u32_e32 v4, vcc, s12, v3
	v_addc_co_u32_e32 v5, vcc, 0, v5, vcc
	v_mov_b32_e32 v3, 1
	global_atomic_add v[4:5], v3, off
	global_load_dwordx2 v[8:9], v1, s[14:15] offset:56
                                        ; implicit-def: $vgpr4_vgpr5
	s_waitcnt vmcnt(0)
	v_cmp_ngt_f64_e32 vcc, v[6:7], v[8:9]
	s_and_saveexec_b64 s[4:5], vcc
	s_xor_b64 s[4:5], exec, s[4:5]
	s_cbranch_execz .LBB3_52
; %bb.47:
	v_cmp_neq_f64_e32 vcc, v[6:7], v[8:9]
                                        ; implicit-def: $sgpr6_sgpr7
	s_and_saveexec_b64 s[8:9], vcc
	s_xor_b64 s[8:9], exec, s[8:9]
; %bb.48:
	s_add_u32 s6, s12, 0x5c
	s_addc_u32 s7, s13, 0
; %bb.49:
	s_or_saveexec_b64 s[8:9], s[8:9]
	v_pk_mov_b32 v[4:5], s[6:7], s[6:7] op_sel:[0,1]
	s_xor_b64 exec, exec, s[8:9]
; %bb.50:
	s_add_u32 s6, s12, 0x58
	s_addc_u32 s7, s13, 0
	v_pk_mov_b32 v[4:5], s[6:7], s[6:7] op_sel:[0,1]
; %bb.51:
	s_or_b64 exec, exec, s[8:9]
.LBB3_52:
	s_andn2_saveexec_b64 s[4:5], s[4:5]
; %bb.53:
	s_add_u32 s6, s12, 0x54
	s_addc_u32 s7, s13, 0
	v_pk_mov_b32 v[4:5], s[6:7], s[6:7] op_sel:[0,1]
; %bb.54:
	s_or_b64 exec, exec, s[4:5]
	s_mov_b64 s[6:7], -1
	s_branch .LBB3_59
.LBB3_55:
	s_cmp_eq_u32 s38, 1
	s_cbranch_scc0 .LBB3_58
; %bb.56:
	s_cmp_gt_u32 s20, 1
	s_cbranch_scc1 .LBB3_60
; %bb.57:
	v_mov_b32_e32 v5, 0
	s_mov_b64 s[6:7], 1.0
	s_mov_b64 s[8:9], 0
	v_pk_mov_b32 v[6:7], s[8:9], s[8:9] op_sel:[0,1]
	v_pk_mov_b32 v[8:9], s[6:7], s[6:7] op_sel:[0,1]
	s_cbranch_execz .LBB3_61
	s_branch .LBB3_64
.LBB3_58:
                                        ; implicit-def: $vgpr4_vgpr5
.LBB3_59:
	s_branch .LBB3_90
.LBB3_60:
                                        ; implicit-def: $sgpr8_sgpr9
                                        ; implicit-def: $sgpr6_sgpr7
                                        ; implicit-def: $vgpr4_vgpr5
	v_pk_mov_b32 v[6:7], s[8:9], s[8:9] op_sel:[0,1]
	v_pk_mov_b32 v[8:9], s[6:7], s[6:7] op_sel:[0,1]
.LBB3_61:
	global_load_ubyte v3, v2, s[24:25]
	v_mov_b32_e32 v5, 0
	s_add_i32 s33, s33, s22
	s_add_i32 s6, s20, -1
	v_mov_b32_e32 v4, 1
	v_add_u32_e32 v0, s33, v0
	v_mov_b32_e32 v1, v5
	s_waitcnt vmcnt(0)
	v_cvt_f64_u32_e32 v[6:7], v3
	v_cmp_le_f64_e64 s[4:5], s[18:19], v[6:7]
	v_mov_b32_e32 v3, 1
.LBB3_62:                               ; =>This Inner Loop Header: Depth=1
	global_load_ubyte v6, v0, s[24:25]
	v_add_u32_e32 v8, 1, v4
	v_max_u32_e32 v9, v4, v1
	s_add_i32 s6, s6, -1
	v_add_u32_e32 v0, s22, v0
	s_waitcnt vmcnt(0)
	v_cvt_f64_u32_e32 v[6:7], v6
	v_cmp_le_f64_e64 s[8:9], s[18:19], v[6:7]
	s_xor_b64 vcc, s[4:5], s[8:9]
	v_cndmask_b32_e64 v4, 0, 1, vcc
	s_mov_b64 s[4:5], s[8:9]
	v_add_u32_e32 v3, v3, v4
	v_cndmask_b32_e64 v4, v8, 1, vcc
	s_cmp_lg_u32 s6, 0
	v_cndmask_b32_e32 v1, v1, v9, vcc
	s_cbranch_scc1 .LBB3_62
; %bb.63:
	v_cvt_f64_u32_e32 v[8:9], v3
	v_cvt_f64_u32_e32 v[6:7], v1
.LBB3_64:
	s_load_dwordx2 s[4:5], s[14:15], 0x20
	v_mov_b32_e32 v0, s13
	v_mov_b32_e32 v3, 0
	;; [unrolled: 1-line block ×4, first 2 shown]
	s_waitcnt lgkmcnt(0)
	v_cmp_eq_f64_e32 vcc, s[4:5], v[8:9]
	v_cndmask_b32_e64 v1, 56, 52, vcc
	v_cmp_nlt_f64_e32 vcc, s[4:5], v[8:9]
	v_cndmask_b32_e32 v1, 48, v1, vcc
	v_add_co_u32_e32 v8, vcc, s12, v1
	v_addc_co_u32_e32 v9, vcc, 0, v0, vcc
	v_mov_b32_e32 v0, 1
	global_atomic_add v[8:9], v0, off
	global_load_dwordx2 v[8:9], v3, s[14:15] offset:40
	v_add_co_u32_e32 v4, vcc, s26, v2
	v_addc_co_u32_e32 v5, vcc, v11, v5, vcc
	v_mov_b32_e32 v1, 0x44
	s_add_i32 s4, s21, -1
	s_cmp_lt_u32 s4, 2
	s_waitcnt vmcnt(0)
	v_cmp_eq_f64_e32 vcc, v[6:7], v[8:9]
	v_cndmask_b32_e64 v1, v1, 64, vcc
	v_cmp_ngt_f64_e32 vcc, v[6:7], v[8:9]
	v_cndmask_b32_e32 v1, 60, v1, vcc
	v_add_co_u32_e32 v6, vcc, s12, v1
	v_addc_co_u32_e32 v7, vcc, 0, v10, vcc
	global_atomic_add v[6:7], v0, off
	global_load_ubyte v1, v[4:5], off
	v_add_u32_e32 v4, s22, v2
	global_load_ubyte v4, v4, s[26:27]
	s_waitcnt vmcnt(1)
	v_lshrrev_b16_e32 v5, 7, v1
	v_lshrrev_b16_e32 v6, 6, v1
	;; [unrolled: 1-line block ×7, first 2 shown]
	v_and_b32_e32 v1, 1, v1
	s_waitcnt vmcnt(0)
	v_lshrrev_b16_e32 v12, 7, v4
	v_lshrrev_b16_e32 v13, 6, v4
	v_lshrrev_b16_e32 v14, 5, v4
	v_lshrrev_b16_e32 v15, 4, v4
	v_lshrrev_b16_e32 v16, 3, v4
	v_lshrrev_b16_e32 v17, 2, v4
	v_lshrrev_b16_e32 v18, 1, v4
	v_and_b32_e32 v4, 1, v4
	v_and_b32_e32 v6, 1, v6
	v_add_u16_e32 v1, v1, v5
	v_and_b32_e32 v5, 1, v13
	v_add_u16_e32 v4, v4, v12
	v_and_b32_e32 v7, 1, v7
	v_and_b32_e32 v13, 1, v14
	v_add_u16_e32 v1, v1, v6
	v_add_u16_e32 v4, v4, v5
	v_and_b32_e32 v8, 1, v8
	v_and_b32_e32 v14, 1, v15
	v_add_u16_e32 v1, v1, v7
	;; [unrolled: 4-line block ×5, first 2 shown]
	v_add_u16_e32 v4, v4, v16
	v_add_u16_e32 v1, v1, v11
	;; [unrolled: 1-line block ×3, first 2 shown]
	v_cmp_le_u16_sdwa s[4:5], v1, v4 src0_sel:BYTE_0 src1_sel:BYTE_0
	s_cbranch_scc1 .LBB3_68
; %bb.65:
	s_add_i32 s8, s21, -2
	s_lshl_b32 s9, s22, 1
	v_mov_b32_e32 v1, 0
	v_mov_b32_e32 v5, v2
	;; [unrolled: 1-line block ×4, first 2 shown]
                                        ; implicit-def: $sgpr6_sgpr7
.LBB3_66:                               ; =>This Inner Loop Header: Depth=1
	v_add_u32_e32 v6, s22, v5
	v_add_u32_e32 v5, s9, v5
	global_load_ubyte v7, v6, s[26:27]
	global_load_ubyte v8, v5, s[26:27]
	v_cndmask_b32_e64 v5, 0, 1, s[4:5]
	v_add_u32_e32 v9, 1, v0
	v_max_u32_e32 v10, v0, v1
	v_add_u32_e32 v3, v3, v5
	v_mov_b32_e32 v5, v6
	s_andn2_b64 s[6:7], s[6:7], exec
	s_add_i32 s8, s8, -1
	s_waitcnt vmcnt(1)
	v_lshrrev_b16_e32 v0, 7, v7
	v_lshrrev_b16_e32 v6, 6, v7
	;; [unrolled: 1-line block ×7, first 2 shown]
	v_and_b32_e32 v7, 1, v7
	s_waitcnt vmcnt(0)
	v_lshrrev_b16_e32 v16, 7, v8
	v_lshrrev_b16_e32 v17, 6, v8
	;; [unrolled: 1-line block ×7, first 2 shown]
	v_and_b32_e32 v8, 1, v8
	v_and_b32_e32 v6, 1, v6
	v_add_u16_e32 v0, v7, v0
	v_and_b32_e32 v7, 1, v17
	v_add_u16_e32 v8, v8, v16
	v_and_b32_e32 v11, 1, v11
	v_and_b32_e32 v17, 1, v18
	v_add_u16_e32 v0, v0, v6
	v_add_u16_e32 v6, v8, v7
	v_and_b32_e32 v12, 1, v12
	v_and_b32_e32 v18, 1, v19
	v_add_u16_e32 v0, v0, v11
	;; [unrolled: 4-line block ×5, first 2 shown]
	v_add_u16_e32 v6, v6, v20
	v_add_u16_e32 v0, v0, v15
	;; [unrolled: 1-line block ×3, first 2 shown]
	v_cmp_le_u16_sdwa s[10:11], v0, v6 src0_sel:BYTE_0 src1_sel:BYTE_0
	s_xor_b64 vcc, s[4:5], s[10:11]
	s_and_b64 s[18:19], s[10:11], exec
	v_cndmask_b32_e64 v0, 0, 1, vcc
	s_or_b64 s[6:7], s[6:7], s[18:19]
	s_mov_b64 s[4:5], s[10:11]
	v_add_u32_e32 v4, v4, v0
	v_cndmask_b32_e64 v0, v9, 1, vcc
	s_cmp_lg_u32 s8, 0
	v_cndmask_b32_e32 v1, v1, v10, vcc
	s_cbranch_scc1 .LBB3_66
; %bb.67:
	v_cvt_f64_u32_e32 v[4:5], v4
	v_cvt_f64_u32_e32 v[0:1], v1
	s_mov_b64 s[4:5], s[6:7]
	s_branch .LBB3_69
.LBB3_68:
	v_mov_b32_e32 v4, 0
	v_pk_mov_b32 v[0:1], 0, 0
	v_mov_b32_e32 v5, 0x3ff00000
.LBB3_69:
	v_mov_b32_e32 v8, 0
	global_load_dwordx2 v[6:7], v8, s[14:15] offset:8
	v_mov_b32_e32 v9, s13
	v_mov_b32_e32 v10, 1
	s_waitcnt vmcnt(0)
	v_cmp_eq_f64_e32 vcc, v[4:5], v[6:7]
	v_cndmask_b32_e64 v11, 20, 16, vcc
	v_cmp_ngt_f64_e32 vcc, v[4:5], v[6:7]
	v_cndmask_b32_e32 v4, 12, v11, vcc
	v_add_co_u32_e32 v4, vcc, s12, v4
	v_addc_co_u32_e32 v5, vcc, 0, v9, vcc
	global_atomic_add v[4:5], v10, off
	global_load_dwordx2 v[4:5], v8, s[14:15] offset:16
	v_mov_b32_e32 v6, s13
	s_waitcnt vmcnt(0)
	v_cmp_eq_f64_e32 vcc, v[0:1], v[4:5]
	v_cndmask_b32_e64 v7, 32, 28, vcc
	v_cmp_ngt_f64_e32 vcc, v[0:1], v[4:5]
	v_cndmask_b32_e32 v0, 24, v7, vcc
	v_add_co_u32_e32 v0, vcc, s12, v0
	v_addc_co_u32_e32 v1, vcc, 0, v6, vcc
	global_atomic_add v[0:1], v10, off
	global_load_dwordx2 v[0:1], v8, s[14:15] offset:24
	v_cndmask_b32_e64 v4, 0, 1, s[4:5]
	v_add_u32_e32 v3, v3, v4
	v_sub_u32_e32 v4, s21, v3
	v_max_u32_e32 v3, v3, v4
	v_cvt_f64_u32_e32 v[6:7], v3
                                        ; implicit-def: $vgpr4_vgpr5
	s_waitcnt vmcnt(0)
	v_cmp_nlt_f64_e32 vcc, v[0:1], v[6:7]
	s_and_saveexec_b64 s[4:5], vcc
	s_xor_b64 s[4:5], exec, s[4:5]
	s_cbranch_execz .LBB3_75
; %bb.70:
	v_cmp_neq_f64_e32 vcc, v[0:1], v[6:7]
                                        ; implicit-def: $sgpr6_sgpr7
	s_and_saveexec_b64 s[8:9], vcc
	s_xor_b64 s[8:9], exec, s[8:9]
; %bb.71:
	s_add_u32 s6, s12, 44
	s_addc_u32 s7, s13, 0
; %bb.72:
	s_or_saveexec_b64 s[8:9], s[8:9]
	v_pk_mov_b32 v[4:5], s[6:7], s[6:7] op_sel:[0,1]
	s_xor_b64 exec, exec, s[8:9]
; %bb.73:
	s_add_u32 s6, s12, 40
	s_addc_u32 s7, s13, 0
	v_pk_mov_b32 v[4:5], s[6:7], s[6:7] op_sel:[0,1]
; %bb.74:
	s_or_b64 exec, exec, s[8:9]
.LBB3_75:
	s_andn2_saveexec_b64 s[4:5], s[4:5]
; %bb.76:
	s_add_u32 s6, s12, 36
	s_addc_u32 s7, s13, 0
	v_pk_mov_b32 v[4:5], s[6:7], s[6:7] op_sel:[0,1]
; %bb.77:
	s_or_b64 exec, exec, s[4:5]
	s_mov_b64 s[6:7], -1
	s_branch .LBB3_90
.LBB3_78:
	s_cmp_eq_u32 s20, 0
	s_mov_b32 s21, 0
	s_cbranch_scc1 .LBB3_82
; %bb.79:
	v_mov_b32_e32 v1, s25
	v_add_co_u32_e32 v0, vcc, s24, v2
	v_pk_mov_b32 v[2:3], 0, 0
	v_addc_co_u32_e32 v1, vcc, 0, v1, vcc
	s_mov_b64 s[4:5], 0
	v_mov_b32_e32 v6, s21
	v_pk_mov_b32 v[4:5], v[2:3], v[2:3] op_sel:[0,1]
.LBB3_80:                               ; =>This Inner Loop Header: Depth=1
	global_load_ubyte v7, v[0:1], off
	s_add_u32 s4, s4, 1
	s_addc_u32 s5, s5, 0
	v_cvt_f64_u32_e32 v[10:11], s5
	v_cvt_f64_u32_e32 v[8:9], s4
	v_ldexp_f64 v[10:11], v[10:11], 32
	v_add_f64 v[8:9], v[10:11], v[8:9]
	v_add_co_u32_e32 v0, vcc, s22, v0
	v_addc_co_u32_e32 v1, vcc, v1, v6, vcc
	s_cmp_lg_u64 s[20:21], s[4:5]
	s_waitcnt vmcnt(0)
	v_cvt_f64_u32_e32 v[10:11], v7
	v_add_f64 v[2:3], v[2:3], v[10:11]
	v_fma_f64 v[8:9], -v[8:9], s[16:17], v[2:3]
	v_and_b32_e32 v7, 0x7fffffff, v9
	v_cmp_lt_f64_e64 vcc, v[4:5], |v[8:9]|
	v_cndmask_b32_e32 v5, v5, v7, vcc
	v_cndmask_b32_e32 v4, v4, v8, vcc
	s_cbranch_scc1 .LBB3_80
; %bb.81:
	v_cvt_f32_f64_e32 v0, v[4:5]
	s_branch .LBB3_83
.LBB3_82:
	v_mov_b32_e32 v0, 0
.LBB3_83:
	s_load_dwordx2 s[4:5], s[14:15], 0x0
	v_pk_mov_b32 v[4:5], s[12:13], s[12:13] op_sel:[0,1]
	s_waitcnt lgkmcnt(0)
	v_cvt_f32_f64_e32 v1, s[4:5]
	v_cmp_ngt_f32_e32 vcc, v0, v1
	s_and_saveexec_b64 s[4:5], vcc
	s_cbranch_execz .LBB3_89
; %bb.84:
	v_cmp_neq_f32_e32 vcc, v0, v1
                                        ; implicit-def: $sgpr6_sgpr7
	s_and_saveexec_b64 s[8:9], vcc
	s_xor_b64 s[8:9], exec, s[8:9]
; %bb.85:
	s_add_u32 s6, s12, 8
	s_addc_u32 s7, s13, 0
; %bb.86:
	s_or_saveexec_b64 s[8:9], s[8:9]
	v_pk_mov_b32 v[4:5], s[6:7], s[6:7] op_sel:[0,1]
	s_xor_b64 exec, exec, s[8:9]
; %bb.87:
	s_add_u32 s6, s12, 4
	s_addc_u32 s7, s13, 0
	v_pk_mov_b32 v[4:5], s[6:7], s[6:7] op_sel:[0,1]
; %bb.88:
	s_or_b64 exec, exec, s[8:9]
.LBB3_89:
	s_or_b64 exec, exec, s[4:5]
	s_mov_b64 s[6:7], -1
.LBB3_90:
	s_and_b64 vcc, exec, s[6:7]
	s_cbranch_vccnz .LBB3_92
; %bb.91:
	s_endpgm
.LBB3_92:
	v_mov_b32_e32 v0, 1
	global_atomic_add v[4:5], v0, off
	s_endpgm
	.section	.rodata,"a",@progbits
	.p2align	6, 0x0
	.amdhsa_kernel _Z31binary_statistical_tests_kernelPjPKdddPKhS3_jjjjj
		.amdhsa_group_segment_fixed_size 0
		.amdhsa_private_segment_fixed_size 272
		.amdhsa_kernarg_size 328
		.amdhsa_user_sgpr_count 8
		.amdhsa_user_sgpr_private_segment_buffer 1
		.amdhsa_user_sgpr_dispatch_ptr 0
		.amdhsa_user_sgpr_queue_ptr 0
		.amdhsa_user_sgpr_kernarg_segment_ptr 1
		.amdhsa_user_sgpr_dispatch_id 0
		.amdhsa_user_sgpr_flat_scratch_init 1
		.amdhsa_user_sgpr_kernarg_preload_length 0
		.amdhsa_user_sgpr_kernarg_preload_offset 0
		.amdhsa_user_sgpr_private_segment_size 0
		.amdhsa_uses_dynamic_stack 0
		.amdhsa_system_sgpr_private_segment_wavefront_offset 1
		.amdhsa_system_sgpr_workgroup_id_x 1
		.amdhsa_system_sgpr_workgroup_id_y 0
		.amdhsa_system_sgpr_workgroup_id_z 0
		.amdhsa_system_sgpr_workgroup_info 0
		.amdhsa_system_vgpr_workitem_id 0
		.amdhsa_next_free_vgpr 24
		.amdhsa_next_free_sgpr 42
		.amdhsa_accum_offset 24
		.amdhsa_reserve_vcc 1
		.amdhsa_reserve_flat_scratch 0
		.amdhsa_float_round_mode_32 0
		.amdhsa_float_round_mode_16_64 0
		.amdhsa_float_denorm_mode_32 3
		.amdhsa_float_denorm_mode_16_64 3
		.amdhsa_dx10_clamp 1
		.amdhsa_ieee_mode 1
		.amdhsa_fp16_overflow 0
		.amdhsa_tg_split 0
		.amdhsa_exception_fp_ieee_invalid_op 0
		.amdhsa_exception_fp_denorm_src 0
		.amdhsa_exception_fp_ieee_div_zero 0
		.amdhsa_exception_fp_ieee_overflow 0
		.amdhsa_exception_fp_ieee_underflow 0
		.amdhsa_exception_fp_ieee_inexact 0
		.amdhsa_exception_int_div_zero 0
	.end_amdhsa_kernel
	.text
.Lfunc_end3:
	.size	_Z31binary_statistical_tests_kernelPjPKdddPKhS3_jjjjj, .Lfunc_end3-_Z31binary_statistical_tests_kernelPjPKdddPKhS3_jjjjj
                                        ; -- End function
	.section	.AMDGPU.csdata,"",@progbits
; Kernel info:
; codeLenInByte = 5700
; NumSgprs: 46
; NumVgprs: 24
; NumAgprs: 0
; TotalNumVgprs: 24
; ScratchSize: 272
; MemoryBound: 0
; FloatMode: 240
; IeeeMode: 1
; LDSByteSize: 0 bytes/workgroup (compile time only)
; SGPRBlocks: 5
; VGPRBlocks: 2
; NumSGPRsForWavesPerEU: 46
; NumVGPRsForWavesPerEU: 24
; AccumOffset: 24
; Occupancy: 8
; WaveLimiterHint : 0
; COMPUTE_PGM_RSRC2:SCRATCH_EN: 1
; COMPUTE_PGM_RSRC2:USER_SGPR: 8
; COMPUTE_PGM_RSRC2:TRAP_HANDLER: 0
; COMPUTE_PGM_RSRC2:TGID_X_EN: 1
; COMPUTE_PGM_RSRC2:TGID_Y_EN: 0
; COMPUTE_PGM_RSRC2:TGID_Z_EN: 0
; COMPUTE_PGM_RSRC2:TIDIG_COMP_CNT: 0
; COMPUTE_PGM_RSRC3_GFX90A:ACCUM_OFFSET: 5
; COMPUTE_PGM_RSRC3_GFX90A:TG_SPLIT: 0
	.text
	.p2alignl 6, 3212836864
	.fill 256, 4, 3212836864
	.type	__hip_cuid_ce4640c2dbb162cb,@object ; @__hip_cuid_ce4640c2dbb162cb
	.section	.bss,"aw",@nobits
	.globl	__hip_cuid_ce4640c2dbb162cb
__hip_cuid_ce4640c2dbb162cb:
	.byte	0                               ; 0x0
	.size	__hip_cuid_ce4640c2dbb162cb, 1

	.ident	"AMD clang version 19.0.0git (https://github.com/RadeonOpenCompute/llvm-project roc-6.4.0 25133 c7fe45cf4b819c5991fe208aaa96edf142730f1d)"
	.section	".note.GNU-stack","",@progbits
	.addrsig
	.addrsig_sym __hip_cuid_ce4640c2dbb162cb
	.amdgpu_metadata
---
amdhsa.kernels:
  - .agpr_count:     0
    .args:
      - .address_space:  global
        .offset:         0
        .size:           8
        .value_kind:     global_buffer
      - .address_space:  global
        .offset:         8
        .size:           8
        .value_kind:     global_buffer
      - .offset:         16
        .size:           4
        .value_kind:     by_value
      - .offset:         20
        .size:           4
        .value_kind:     by_value
      - .offset:         24
        .size:           4
        .value_kind:     hidden_block_count_x
      - .offset:         28
        .size:           4
        .value_kind:     hidden_block_count_y
      - .offset:         32
        .size:           4
        .value_kind:     hidden_block_count_z
      - .offset:         36
        .size:           2
        .value_kind:     hidden_group_size_x
      - .offset:         38
        .size:           2
        .value_kind:     hidden_group_size_y
      - .offset:         40
        .size:           2
        .value_kind:     hidden_group_size_z
      - .offset:         42
        .size:           2
        .value_kind:     hidden_remainder_x
      - .offset:         44
        .size:           2
        .value_kind:     hidden_remainder_y
      - .offset:         46
        .size:           2
        .value_kind:     hidden_remainder_z
      - .offset:         64
        .size:           8
        .value_kind:     hidden_global_offset_x
      - .offset:         72
        .size:           8
        .value_kind:     hidden_global_offset_y
      - .offset:         80
        .size:           8
        .value_kind:     hidden_global_offset_z
      - .offset:         88
        .size:           2
        .value_kind:     hidden_grid_dims
    .group_segment_fixed_size: 0
    .kernarg_segment_align: 8
    .kernarg_segment_size: 280
    .language:       OpenCL C
    .language_version:
      - 2
      - 0
    .max_flat_workgroup_size: 1024
    .name:           _Z16shuffling_kernelPhPKhjj
    .private_segment_fixed_size: 0
    .sgpr_count:     14
    .sgpr_spill_count: 0
    .symbol:         _Z16shuffling_kernelPhPKhjj.kd
    .uniform_work_group_size: 1
    .uses_dynamic_stack: false
    .vgpr_count:     14
    .vgpr_spill_count: 0
    .wavefront_size: 64
  - .agpr_count:     0
    .args:
      - .address_space:  global
        .offset:         0
        .size:           8
        .value_kind:     global_buffer
      - .address_space:  global
        .offset:         8
        .size:           8
        .value_kind:     global_buffer
      - .offset:         16
        .size:           8
        .value_kind:     by_value
      - .offset:         24
        .size:           8
        .value_kind:     by_value
      - .address_space:  global
        .offset:         32
        .size:           8
        .value_kind:     global_buffer
      - .offset:         40
        .size:           4
        .value_kind:     by_value
      - .offset:         44
        .size:           4
        .value_kind:     by_value
      - .offset:         48
        .size:           4
        .value_kind:     by_value
      - .offset:         52
        .size:           4
        .value_kind:     by_value
      - .offset:         56
        .size:           4
        .value_kind:     hidden_block_count_x
      - .offset:         60
        .size:           4
        .value_kind:     hidden_block_count_y
      - .offset:         64
        .size:           4
        .value_kind:     hidden_block_count_z
      - .offset:         68
        .size:           2
        .value_kind:     hidden_group_size_x
      - .offset:         70
        .size:           2
        .value_kind:     hidden_group_size_y
      - .offset:         72
        .size:           2
        .value_kind:     hidden_group_size_z
      - .offset:         74
        .size:           2
        .value_kind:     hidden_remainder_x
      - .offset:         76
        .size:           2
        .value_kind:     hidden_remainder_y
      - .offset:         78
        .size:           2
        .value_kind:     hidden_remainder_z
      - .offset:         96
        .size:           8
        .value_kind:     hidden_global_offset_x
      - .offset:         104
        .size:           8
        .value_kind:     hidden_global_offset_y
      - .offset:         112
        .size:           8
        .value_kind:     hidden_global_offset_z
      - .offset:         120
        .size:           2
        .value_kind:     hidden_grid_dims
    .group_segment_fixed_size: 0
    .kernarg_segment_align: 8
    .kernarg_segment_size: 312
    .language:       OpenCL C
    .language_version:
      - 2
      - 0
    .max_flat_workgroup_size: 1024
    .name:           _Z24statistical_tests_kernelPjPKdddPKhjjjj
    .private_segment_fixed_size: 272
    .sgpr_count:     40
    .sgpr_spill_count: 0
    .symbol:         _Z24statistical_tests_kernelPjPKdddPKhjjjj.kd
    .uniform_work_group_size: 1
    .uses_dynamic_stack: false
    .vgpr_count:     22
    .vgpr_spill_count: 0
    .wavefront_size: 64
  - .agpr_count:     0
    .args:
      - .address_space:  global
        .offset:         0
        .size:           8
        .value_kind:     global_buffer
      - .address_space:  global
        .offset:         8
        .size:           8
        .value_kind:     global_buffer
      - .address_space:  global
        .offset:         16
        .size:           8
        .value_kind:     global_buffer
      - .offset:         24
        .size:           4
        .value_kind:     by_value
      - .offset:         28
        .size:           4
        .value_kind:     by_value
      - .offset:         32
        .size:           4
        .value_kind:     by_value
      - .offset:         40
        .size:           4
        .value_kind:     hidden_block_count_x
      - .offset:         44
        .size:           4
        .value_kind:     hidden_block_count_y
      - .offset:         48
        .size:           4
        .value_kind:     hidden_block_count_z
      - .offset:         52
        .size:           2
        .value_kind:     hidden_group_size_x
      - .offset:         54
        .size:           2
        .value_kind:     hidden_group_size_y
      - .offset:         56
        .size:           2
        .value_kind:     hidden_group_size_z
      - .offset:         58
        .size:           2
        .value_kind:     hidden_remainder_x
      - .offset:         60
        .size:           2
        .value_kind:     hidden_remainder_y
      - .offset:         62
        .size:           2
        .value_kind:     hidden_remainder_z
      - .offset:         80
        .size:           8
        .value_kind:     hidden_global_offset_x
      - .offset:         88
        .size:           8
        .value_kind:     hidden_global_offset_y
      - .offset:         96
        .size:           8
        .value_kind:     hidden_global_offset_z
      - .offset:         104
        .size:           2
        .value_kind:     hidden_grid_dims
    .group_segment_fixed_size: 0
    .kernarg_segment_align: 8
    .kernarg_segment_size: 296
    .language:       OpenCL C
    .language_version:
      - 2
      - 0
    .max_flat_workgroup_size: 1024
    .name:           _Z23binary_shuffling_kernelPhS_PKhjjj
    .private_segment_fixed_size: 0
    .sgpr_count:     18
    .sgpr_spill_count: 0
    .symbol:         _Z23binary_shuffling_kernelPhS_PKhjjj.kd
    .uniform_work_group_size: 1
    .uses_dynamic_stack: false
    .vgpr_count:     25
    .vgpr_spill_count: 0
    .wavefront_size: 64
  - .agpr_count:     0
    .args:
      - .address_space:  global
        .offset:         0
        .size:           8
        .value_kind:     global_buffer
      - .address_space:  global
        .offset:         8
        .size:           8
        .value_kind:     global_buffer
      - .offset:         16
        .size:           8
        .value_kind:     by_value
      - .offset:         24
        .size:           8
        .value_kind:     by_value
      - .address_space:  global
        .offset:         32
        .size:           8
        .value_kind:     global_buffer
      - .address_space:  global
        .offset:         40
        .size:           8
        .value_kind:     global_buffer
      - .offset:         48
        .size:           4
        .value_kind:     by_value
      - .offset:         52
        .size:           4
        .value_kind:     by_value
      - .offset:         56
        .size:           4
        .value_kind:     by_value
      - .offset:         60
        .size:           4
        .value_kind:     by_value
      - .offset:         64
        .size:           4
        .value_kind:     by_value
      - .offset:         72
        .size:           4
        .value_kind:     hidden_block_count_x
      - .offset:         76
        .size:           4
        .value_kind:     hidden_block_count_y
      - .offset:         80
        .size:           4
        .value_kind:     hidden_block_count_z
      - .offset:         84
        .size:           2
        .value_kind:     hidden_group_size_x
      - .offset:         86
        .size:           2
        .value_kind:     hidden_group_size_y
      - .offset:         88
        .size:           2
        .value_kind:     hidden_group_size_z
      - .offset:         90
        .size:           2
        .value_kind:     hidden_remainder_x
      - .offset:         92
        .size:           2
        .value_kind:     hidden_remainder_y
      - .offset:         94
        .size:           2
        .value_kind:     hidden_remainder_z
      - .offset:         112
        .size:           8
        .value_kind:     hidden_global_offset_x
      - .offset:         120
        .size:           8
        .value_kind:     hidden_global_offset_y
      - .offset:         128
        .size:           8
        .value_kind:     hidden_global_offset_z
      - .offset:         136
        .size:           2
        .value_kind:     hidden_grid_dims
    .group_segment_fixed_size: 0
    .kernarg_segment_align: 8
    .kernarg_segment_size: 328
    .language:       OpenCL C
    .language_version:
      - 2
      - 0
    .max_flat_workgroup_size: 1024
    .name:           _Z31binary_statistical_tests_kernelPjPKdddPKhS3_jjjjj
    .private_segment_fixed_size: 272
    .sgpr_count:     46
    .sgpr_spill_count: 0
    .symbol:         _Z31binary_statistical_tests_kernelPjPKdddPKhS3_jjjjj.kd
    .uniform_work_group_size: 1
    .uses_dynamic_stack: false
    .vgpr_count:     24
    .vgpr_spill_count: 0
    .wavefront_size: 64
amdhsa.target:   amdgcn-amd-amdhsa--gfx90a
amdhsa.version:
  - 1
  - 2
...

	.end_amdgpu_metadata
